;; amdgpu-corpus repo=ROCm/composable_kernel kind=compiled arch=gfx1100 opt=O3
	.text
	.amdgcn_target "amdgcn-amd-amdhsa--gfx1100"
	.amdhsa_code_object_version 6
	.section	.text._ZN2ckL12flush_icacheEv,"axG",@progbits,_ZN2ckL12flush_icacheEv,comdat
	.globl	_ZN2ckL12flush_icacheEv         ; -- Begin function _ZN2ckL12flush_icacheEv
	.p2align	8
	.type	_ZN2ckL12flush_icacheEv,@function
_ZN2ckL12flush_icacheEv:                ; @_ZN2ckL12flush_icacheEv
; %bb.0:
	;;#ASMSTART
	s_icache_inv 
	s_nop 0 
	s_nop 0 
	;; [unrolled: 1-line block ×16, first 2 shown]
	
	;;#ASMEND
	s_endpgm
	.section	.rodata,"a",@progbits
	.p2align	6, 0x0
	.amdhsa_kernel _ZN2ckL12flush_icacheEv
		.amdhsa_group_segment_fixed_size 0
		.amdhsa_private_segment_fixed_size 0
		.amdhsa_kernarg_size 0
		.amdhsa_user_sgpr_count 15
		.amdhsa_user_sgpr_dispatch_ptr 0
		.amdhsa_user_sgpr_queue_ptr 0
		.amdhsa_user_sgpr_kernarg_segment_ptr 0
		.amdhsa_user_sgpr_dispatch_id 0
		.amdhsa_user_sgpr_private_segment_size 0
		.amdhsa_wavefront_size32 1
		.amdhsa_uses_dynamic_stack 0
		.amdhsa_enable_private_segment 0
		.amdhsa_system_sgpr_workgroup_id_x 1
		.amdhsa_system_sgpr_workgroup_id_y 0
		.amdhsa_system_sgpr_workgroup_id_z 0
		.amdhsa_system_sgpr_workgroup_info 0
		.amdhsa_system_vgpr_workitem_id 0
		.amdhsa_next_free_vgpr 1
		.amdhsa_next_free_sgpr 1
		.amdhsa_reserve_vcc 0
		.amdhsa_float_round_mode_32 0
		.amdhsa_float_round_mode_16_64 0
		.amdhsa_float_denorm_mode_32 3
		.amdhsa_float_denorm_mode_16_64 3
		.amdhsa_dx10_clamp 1
		.amdhsa_ieee_mode 1
		.amdhsa_fp16_overflow 0
		.amdhsa_workgroup_processor_mode 1
		.amdhsa_memory_ordered 1
		.amdhsa_forward_progress 0
		.amdhsa_shared_vgpr_count 0
		.amdhsa_exception_fp_ieee_invalid_op 0
		.amdhsa_exception_fp_denorm_src 0
		.amdhsa_exception_fp_ieee_div_zero 0
		.amdhsa_exception_fp_ieee_overflow 0
		.amdhsa_exception_fp_ieee_underflow 0
		.amdhsa_exception_fp_ieee_inexact 0
		.amdhsa_exception_int_div_zero 0
	.end_amdhsa_kernel
	.section	.text._ZN2ckL12flush_icacheEv,"axG",@progbits,_ZN2ckL12flush_icacheEv,comdat
.Lfunc_end0:
	.size	_ZN2ckL12flush_icacheEv, .Lfunc_end0-_ZN2ckL12flush_icacheEv
                                        ; -- End function
	.section	.AMDGPU.csdata,"",@progbits
; Kernel info:
; codeLenInByte = 344
; NumSgprs: 0
; NumVgprs: 0
; ScratchSize: 0
; MemoryBound: 0
; FloatMode: 240
; IeeeMode: 1
; LDSByteSize: 0 bytes/workgroup (compile time only)
; SGPRBlocks: 0
; VGPRBlocks: 0
; NumSGPRsForWavesPerEU: 1
; NumVGPRsForWavesPerEU: 1
; Occupancy: 16
; WaveLimiterHint : 0
; COMPUTE_PGM_RSRC2:SCRATCH_EN: 0
; COMPUTE_PGM_RSRC2:USER_SGPR: 15
; COMPUTE_PGM_RSRC2:TRAP_HANDLER: 0
; COMPUTE_PGM_RSRC2:TGID_X_EN: 1
; COMPUTE_PGM_RSRC2:TGID_Y_EN: 0
; COMPUTE_PGM_RSRC2:TGID_Z_EN: 0
; COMPUTE_PGM_RSRC2:TIDIG_COMP_CNT: 0
	.section	.text._ZN2ck36kernel_gemm_mupltipe_d_wmma_cshuffleINS_26GridwiseGemmMultipleD_WmmaIDF16_DF16_ffNS_5TupleIJDF16_EEEDF16_NS_16TensorDescriptorINS2_IJNS_5EmbedINS2_IJiiEEENS2_IJiNS_17integral_constantIiLi1EEEEEELb0EEENS_8RightPadIiiLb0EEESC_NS_7UnMergeINS2_IJiNS7_IiLi8EEEEEELb0EEENS_11PassThroughIiEEEEENS2_IJNS_8SequenceIJLi0EEEENSK_IJLi1EEEENSK_IJLi2EEEENSK_IJLi4EEEENSK_IJLi3EEEEEEENS2_IJNSK_IJLi1ELi2EEEESP_SO_NSK_IJLi5ELi6EEEENSK_IJLi7EEEEEEENSK_IJLi5ELi7ELi6EEEElEESW_NS2_IJNS4_INS2_IJSA_SC_SC_EEENS2_IJSL_SM_SN_EEENS2_IJSR_SP_SO_EEENSK_IJLi3ELi4EEEElEEEEES11_NS_16tensor_operation12element_wise11PassThroughES15_12AlphaBetaAddLNS_25InMemoryDataOperationEnumE0ELi128ELi64ELi64ELi16ELi16ELi8ELi4ELi2ELi128ENSK_IJLi4ELi32ELi1EEEENSK_IJLi1ELi0ELi2EEEES19_Li2ELi8ELi8ELb0ELb1ELb1ES18_S19_S19_Li2ELi8ELi8ELb0ELb1ELb1ELi1ELi1ENSK_IJLi1ELi32ELi1ELi4EEEELi8ELi2ELNS_13LoopSchedulerE0ELNS_15PipelineVersionE0EEEDF16_DF16_NS2_IJPKDF16_EEEDF16_SW_SW_NS2_IJNS4_INS2_IJSA_SC_SC_NSD_INS2_IJiNS7_IiLi128EEEEEELb0EEENSD_INS2_IJiNS7_IiLi64EEEEEELb0EEEEEENS2_IJSL_SM_SN_SP_SO_EEENS2_IJSR_SP_SO_SS_NSK_IJLi7ELi8EEEEEEENSK_IJLi5ELi6ELi7ELi8EEEElEEEEES1S_S15_S15_S16_NS_31BlockToCTileMap_M00_N0_M01AdaptILi128ELi64ES11_iEELb1EEEvPKT0_PKT1_T2_PT3_T4_T5_T6_T7_T8_T9_T10_T11_,"axG",@progbits,_ZN2ck36kernel_gemm_mupltipe_d_wmma_cshuffleINS_26GridwiseGemmMultipleD_WmmaIDF16_DF16_ffNS_5TupleIJDF16_EEEDF16_NS_16TensorDescriptorINS2_IJNS_5EmbedINS2_IJiiEEENS2_IJiNS_17integral_constantIiLi1EEEEEELb0EEENS_8RightPadIiiLb0EEESC_NS_7UnMergeINS2_IJiNS7_IiLi8EEEEEELb0EEENS_11PassThroughIiEEEEENS2_IJNS_8SequenceIJLi0EEEENSK_IJLi1EEEENSK_IJLi2EEEENSK_IJLi4EEEENSK_IJLi3EEEEEEENS2_IJNSK_IJLi1ELi2EEEESP_SO_NSK_IJLi5ELi6EEEENSK_IJLi7EEEEEEENSK_IJLi5ELi7ELi6EEEElEESW_NS2_IJNS4_INS2_IJSA_SC_SC_EEENS2_IJSL_SM_SN_EEENS2_IJSR_SP_SO_EEENSK_IJLi3ELi4EEEElEEEEES11_NS_16tensor_operation12element_wise11PassThroughES15_12AlphaBetaAddLNS_25InMemoryDataOperationEnumE0ELi128ELi64ELi64ELi16ELi16ELi8ELi4ELi2ELi128ENSK_IJLi4ELi32ELi1EEEENSK_IJLi1ELi0ELi2EEEES19_Li2ELi8ELi8ELb0ELb1ELb1ES18_S19_S19_Li2ELi8ELi8ELb0ELb1ELb1ELi1ELi1ENSK_IJLi1ELi32ELi1ELi4EEEELi8ELi2ELNS_13LoopSchedulerE0ELNS_15PipelineVersionE0EEEDF16_DF16_NS2_IJPKDF16_EEEDF16_SW_SW_NS2_IJNS4_INS2_IJSA_SC_SC_NSD_INS2_IJiNS7_IiLi128EEEEEELb0EEENSD_INS2_IJiNS7_IiLi64EEEEEELb0EEEEEENS2_IJSL_SM_SN_SP_SO_EEENS2_IJSR_SP_SO_SS_NSK_IJLi7ELi8EEEEEEENSK_IJLi5ELi6ELi7ELi8EEEElEEEEES1S_S15_S15_S16_NS_31BlockToCTileMap_M00_N0_M01AdaptILi128ELi64ES11_iEELb1EEEvPKT0_PKT1_T2_PT3_T4_T5_T6_T7_T8_T9_T10_T11_,comdat
	.protected	_ZN2ck36kernel_gemm_mupltipe_d_wmma_cshuffleINS_26GridwiseGemmMultipleD_WmmaIDF16_DF16_ffNS_5TupleIJDF16_EEEDF16_NS_16TensorDescriptorINS2_IJNS_5EmbedINS2_IJiiEEENS2_IJiNS_17integral_constantIiLi1EEEEEELb0EEENS_8RightPadIiiLb0EEESC_NS_7UnMergeINS2_IJiNS7_IiLi8EEEEEELb0EEENS_11PassThroughIiEEEEENS2_IJNS_8SequenceIJLi0EEEENSK_IJLi1EEEENSK_IJLi2EEEENSK_IJLi4EEEENSK_IJLi3EEEEEEENS2_IJNSK_IJLi1ELi2EEEESP_SO_NSK_IJLi5ELi6EEEENSK_IJLi7EEEEEEENSK_IJLi5ELi7ELi6EEEElEESW_NS2_IJNS4_INS2_IJSA_SC_SC_EEENS2_IJSL_SM_SN_EEENS2_IJSR_SP_SO_EEENSK_IJLi3ELi4EEEElEEEEES11_NS_16tensor_operation12element_wise11PassThroughES15_12AlphaBetaAddLNS_25InMemoryDataOperationEnumE0ELi128ELi64ELi64ELi16ELi16ELi8ELi4ELi2ELi128ENSK_IJLi4ELi32ELi1EEEENSK_IJLi1ELi0ELi2EEEES19_Li2ELi8ELi8ELb0ELb1ELb1ES18_S19_S19_Li2ELi8ELi8ELb0ELb1ELb1ELi1ELi1ENSK_IJLi1ELi32ELi1ELi4EEEELi8ELi2ELNS_13LoopSchedulerE0ELNS_15PipelineVersionE0EEEDF16_DF16_NS2_IJPKDF16_EEEDF16_SW_SW_NS2_IJNS4_INS2_IJSA_SC_SC_NSD_INS2_IJiNS7_IiLi128EEEEEELb0EEENSD_INS2_IJiNS7_IiLi64EEEEEELb0EEEEEENS2_IJSL_SM_SN_SP_SO_EEENS2_IJSR_SP_SO_SS_NSK_IJLi7ELi8EEEEEEENSK_IJLi5ELi6ELi7ELi8EEEElEEEEES1S_S15_S15_S16_NS_31BlockToCTileMap_M00_N0_M01AdaptILi128ELi64ES11_iEELb1EEEvPKT0_PKT1_T2_PT3_T4_T5_T6_T7_T8_T9_T10_T11_ ; -- Begin function _ZN2ck36kernel_gemm_mupltipe_d_wmma_cshuffleINS_26GridwiseGemmMultipleD_WmmaIDF16_DF16_ffNS_5TupleIJDF16_EEEDF16_NS_16TensorDescriptorINS2_IJNS_5EmbedINS2_IJiiEEENS2_IJiNS_17integral_constantIiLi1EEEEEELb0EEENS_8RightPadIiiLb0EEESC_NS_7UnMergeINS2_IJiNS7_IiLi8EEEEEELb0EEENS_11PassThroughIiEEEEENS2_IJNS_8SequenceIJLi0EEEENSK_IJLi1EEEENSK_IJLi2EEEENSK_IJLi4EEEENSK_IJLi3EEEEEEENS2_IJNSK_IJLi1ELi2EEEESP_SO_NSK_IJLi5ELi6EEEENSK_IJLi7EEEEEEENSK_IJLi5ELi7ELi6EEEElEESW_NS2_IJNS4_INS2_IJSA_SC_SC_EEENS2_IJSL_SM_SN_EEENS2_IJSR_SP_SO_EEENSK_IJLi3ELi4EEEElEEEEES11_NS_16tensor_operation12element_wise11PassThroughES15_12AlphaBetaAddLNS_25InMemoryDataOperationEnumE0ELi128ELi64ELi64ELi16ELi16ELi8ELi4ELi2ELi128ENSK_IJLi4ELi32ELi1EEEENSK_IJLi1ELi0ELi2EEEES19_Li2ELi8ELi8ELb0ELb1ELb1ES18_S19_S19_Li2ELi8ELi8ELb0ELb1ELb1ELi1ELi1ENSK_IJLi1ELi32ELi1ELi4EEEELi8ELi2ELNS_13LoopSchedulerE0ELNS_15PipelineVersionE0EEEDF16_DF16_NS2_IJPKDF16_EEEDF16_SW_SW_NS2_IJNS4_INS2_IJSA_SC_SC_NSD_INS2_IJiNS7_IiLi128EEEEEELb0EEENSD_INS2_IJiNS7_IiLi64EEEEEELb0EEEEEENS2_IJSL_SM_SN_SP_SO_EEENS2_IJSR_SP_SO_SS_NSK_IJLi7ELi8EEEEEEENSK_IJLi5ELi6ELi7ELi8EEEElEEEEES1S_S15_S15_S16_NS_31BlockToCTileMap_M00_N0_M01AdaptILi128ELi64ES11_iEELb1EEEvPKT0_PKT1_T2_PT3_T4_T5_T6_T7_T8_T9_T10_T11_
	.globl	_ZN2ck36kernel_gemm_mupltipe_d_wmma_cshuffleINS_26GridwiseGemmMultipleD_WmmaIDF16_DF16_ffNS_5TupleIJDF16_EEEDF16_NS_16TensorDescriptorINS2_IJNS_5EmbedINS2_IJiiEEENS2_IJiNS_17integral_constantIiLi1EEEEEELb0EEENS_8RightPadIiiLb0EEESC_NS_7UnMergeINS2_IJiNS7_IiLi8EEEEEELb0EEENS_11PassThroughIiEEEEENS2_IJNS_8SequenceIJLi0EEEENSK_IJLi1EEEENSK_IJLi2EEEENSK_IJLi4EEEENSK_IJLi3EEEEEEENS2_IJNSK_IJLi1ELi2EEEESP_SO_NSK_IJLi5ELi6EEEENSK_IJLi7EEEEEEENSK_IJLi5ELi7ELi6EEEElEESW_NS2_IJNS4_INS2_IJSA_SC_SC_EEENS2_IJSL_SM_SN_EEENS2_IJSR_SP_SO_EEENSK_IJLi3ELi4EEEElEEEEES11_NS_16tensor_operation12element_wise11PassThroughES15_12AlphaBetaAddLNS_25InMemoryDataOperationEnumE0ELi128ELi64ELi64ELi16ELi16ELi8ELi4ELi2ELi128ENSK_IJLi4ELi32ELi1EEEENSK_IJLi1ELi0ELi2EEEES19_Li2ELi8ELi8ELb0ELb1ELb1ES18_S19_S19_Li2ELi8ELi8ELb0ELb1ELb1ELi1ELi1ENSK_IJLi1ELi32ELi1ELi4EEEELi8ELi2ELNS_13LoopSchedulerE0ELNS_15PipelineVersionE0EEEDF16_DF16_NS2_IJPKDF16_EEEDF16_SW_SW_NS2_IJNS4_INS2_IJSA_SC_SC_NSD_INS2_IJiNS7_IiLi128EEEEEELb0EEENSD_INS2_IJiNS7_IiLi64EEEEEELb0EEEEEENS2_IJSL_SM_SN_SP_SO_EEENS2_IJSR_SP_SO_SS_NSK_IJLi7ELi8EEEEEEENSK_IJLi5ELi6ELi7ELi8EEEElEEEEES1S_S15_S15_S16_NS_31BlockToCTileMap_M00_N0_M01AdaptILi128ELi64ES11_iEELb1EEEvPKT0_PKT1_T2_PT3_T4_T5_T6_T7_T8_T9_T10_T11_
	.p2align	8
	.type	_ZN2ck36kernel_gemm_mupltipe_d_wmma_cshuffleINS_26GridwiseGemmMultipleD_WmmaIDF16_DF16_ffNS_5TupleIJDF16_EEEDF16_NS_16TensorDescriptorINS2_IJNS_5EmbedINS2_IJiiEEENS2_IJiNS_17integral_constantIiLi1EEEEEELb0EEENS_8RightPadIiiLb0EEESC_NS_7UnMergeINS2_IJiNS7_IiLi8EEEEEELb0EEENS_11PassThroughIiEEEEENS2_IJNS_8SequenceIJLi0EEEENSK_IJLi1EEEENSK_IJLi2EEEENSK_IJLi4EEEENSK_IJLi3EEEEEEENS2_IJNSK_IJLi1ELi2EEEESP_SO_NSK_IJLi5ELi6EEEENSK_IJLi7EEEEEEENSK_IJLi5ELi7ELi6EEEElEESW_NS2_IJNS4_INS2_IJSA_SC_SC_EEENS2_IJSL_SM_SN_EEENS2_IJSR_SP_SO_EEENSK_IJLi3ELi4EEEElEEEEES11_NS_16tensor_operation12element_wise11PassThroughES15_12AlphaBetaAddLNS_25InMemoryDataOperationEnumE0ELi128ELi64ELi64ELi16ELi16ELi8ELi4ELi2ELi128ENSK_IJLi4ELi32ELi1EEEENSK_IJLi1ELi0ELi2EEEES19_Li2ELi8ELi8ELb0ELb1ELb1ES18_S19_S19_Li2ELi8ELi8ELb0ELb1ELb1ELi1ELi1ENSK_IJLi1ELi32ELi1ELi4EEEELi8ELi2ELNS_13LoopSchedulerE0ELNS_15PipelineVersionE0EEEDF16_DF16_NS2_IJPKDF16_EEEDF16_SW_SW_NS2_IJNS4_INS2_IJSA_SC_SC_NSD_INS2_IJiNS7_IiLi128EEEEEELb0EEENSD_INS2_IJiNS7_IiLi64EEEEEELb0EEEEEENS2_IJSL_SM_SN_SP_SO_EEENS2_IJSR_SP_SO_SS_NSK_IJLi7ELi8EEEEEEENSK_IJLi5ELi6ELi7ELi8EEEElEEEEES1S_S15_S15_S16_NS_31BlockToCTileMap_M00_N0_M01AdaptILi128ELi64ES11_iEELb1EEEvPKT0_PKT1_T2_PT3_T4_T5_T6_T7_T8_T9_T10_T11_,@function
_ZN2ck36kernel_gemm_mupltipe_d_wmma_cshuffleINS_26GridwiseGemmMultipleD_WmmaIDF16_DF16_ffNS_5TupleIJDF16_EEEDF16_NS_16TensorDescriptorINS2_IJNS_5EmbedINS2_IJiiEEENS2_IJiNS_17integral_constantIiLi1EEEEEELb0EEENS_8RightPadIiiLb0EEESC_NS_7UnMergeINS2_IJiNS7_IiLi8EEEEEELb0EEENS_11PassThroughIiEEEEENS2_IJNS_8SequenceIJLi0EEEENSK_IJLi1EEEENSK_IJLi2EEEENSK_IJLi4EEEENSK_IJLi3EEEEEEENS2_IJNSK_IJLi1ELi2EEEESP_SO_NSK_IJLi5ELi6EEEENSK_IJLi7EEEEEEENSK_IJLi5ELi7ELi6EEEElEESW_NS2_IJNS4_INS2_IJSA_SC_SC_EEENS2_IJSL_SM_SN_EEENS2_IJSR_SP_SO_EEENSK_IJLi3ELi4EEEElEEEEES11_NS_16tensor_operation12element_wise11PassThroughES15_12AlphaBetaAddLNS_25InMemoryDataOperationEnumE0ELi128ELi64ELi64ELi16ELi16ELi8ELi4ELi2ELi128ENSK_IJLi4ELi32ELi1EEEENSK_IJLi1ELi0ELi2EEEES19_Li2ELi8ELi8ELb0ELb1ELb1ES18_S19_S19_Li2ELi8ELi8ELb0ELb1ELb1ELi1ELi1ENSK_IJLi1ELi32ELi1ELi4EEEELi8ELi2ELNS_13LoopSchedulerE0ELNS_15PipelineVersionE0EEEDF16_DF16_NS2_IJPKDF16_EEEDF16_SW_SW_NS2_IJNS4_INS2_IJSA_SC_SC_NSD_INS2_IJiNS7_IiLi128EEEEEELb0EEENSD_INS2_IJiNS7_IiLi64EEEEEELb0EEEEEENS2_IJSL_SM_SN_SP_SO_EEENS2_IJSR_SP_SO_SS_NSK_IJLi7ELi8EEEEEEENSK_IJLi5ELi6ELi7ELi8EEEElEEEEES1S_S15_S15_S16_NS_31BlockToCTileMap_M00_N0_M01AdaptILi128ELi64ES11_iEELb1EEEvPKT0_PKT1_T2_PT3_T4_T5_T6_T7_T8_T9_T10_T11_: ; @_ZN2ck36kernel_gemm_mupltipe_d_wmma_cshuffleINS_26GridwiseGemmMultipleD_WmmaIDF16_DF16_ffNS_5TupleIJDF16_EEEDF16_NS_16TensorDescriptorINS2_IJNS_5EmbedINS2_IJiiEEENS2_IJiNS_17integral_constantIiLi1EEEEEELb0EEENS_8RightPadIiiLb0EEESC_NS_7UnMergeINS2_IJiNS7_IiLi8EEEEEELb0EEENS_11PassThroughIiEEEEENS2_IJNS_8SequenceIJLi0EEEENSK_IJLi1EEEENSK_IJLi2EEEENSK_IJLi4EEEENSK_IJLi3EEEEEEENS2_IJNSK_IJLi1ELi2EEEESP_SO_NSK_IJLi5ELi6EEEENSK_IJLi7EEEEEEENSK_IJLi5ELi7ELi6EEEElEESW_NS2_IJNS4_INS2_IJSA_SC_SC_EEENS2_IJSL_SM_SN_EEENS2_IJSR_SP_SO_EEENSK_IJLi3ELi4EEEElEEEEES11_NS_16tensor_operation12element_wise11PassThroughES15_12AlphaBetaAddLNS_25InMemoryDataOperationEnumE0ELi128ELi64ELi64ELi16ELi16ELi8ELi4ELi2ELi128ENSK_IJLi4ELi32ELi1EEEENSK_IJLi1ELi0ELi2EEEES19_Li2ELi8ELi8ELb0ELb1ELb1ES18_S19_S19_Li2ELi8ELi8ELb0ELb1ELb1ELi1ELi1ENSK_IJLi1ELi32ELi1ELi4EEEELi8ELi2ELNS_13LoopSchedulerE0ELNS_15PipelineVersionE0EEEDF16_DF16_NS2_IJPKDF16_EEEDF16_SW_SW_NS2_IJNS4_INS2_IJSA_SC_SC_NSD_INS2_IJiNS7_IiLi128EEEEEELb0EEENSD_INS2_IJiNS7_IiLi64EEEEEELb0EEEEEENS2_IJSL_SM_SN_SP_SO_EEENS2_IJSR_SP_SO_SS_NSK_IJLi7ELi8EEEEEEENSK_IJLi5ELi6ELi7ELi8EEEElEEEEES1S_S15_S15_S16_NS_31BlockToCTileMap_M00_N0_M01AdaptILi128ELi64ES11_iEELb1EEEvPKT0_PKT1_T2_PT3_T4_T5_T6_T7_T8_T9_T10_T11_
; %bb.0:
	s_clause 0x1
	s_load_b128 s[16:19], s[0:1], 0x154
	s_load_b64 s[28:29], s[0:1], 0x148
	v_lshrrev_b32_e32 v161, 1, v0
	s_abs_i32 s8, s15
	s_load_b32 s9, s[0:1], 0x164
	s_mov_b32 s23, 0x31004000
	s_delay_alu instid0(VALU_DEP_1) | instskip(SKIP_3) | instid1(VALU_DEP_3)
	v_dual_mov_b32 v57, 0 :: v_dual_and_b32 v2, 0x7e, v161
	v_and_b32_e32 v3, 0xfc, v0
	s_mov_b32 s27, s23
	v_lshrrev_b32_e32 v164, 6, v0
	v_mov_b32_e32 v62, v57
	v_dual_mov_b32 v45, v57 :: v_dual_lshlrev_b32 v162, 3, v0
	v_dual_mov_b32 v36, v57 :: v_dual_and_b32 v163, 15, v0
	v_dual_mov_b32 v40, v57 :: v_dual_and_b32 v165, 16, v161
	v_mov_b32_e32 v23, v57
	s_mov_b32 s48, 0
	s_waitcnt lgkmcnt(0)
	s_add_i32 s4, s18, 0x7f
	s_add_i32 s2, s19, 63
	s_ashr_i32 s3, s4, 31
	s_ashr_i32 s5, s2, 31
	s_lshr_b32 s3, s3, 25
	s_lshr_b32 s5, s5, 26
	s_add_i32 s4, s4, s3
	s_add_i32 s2, s2, s5
	s_ashr_i32 s3, s4, 7
	s_ashr_i32 s2, s2, 6
                                        ; implicit-def: $sgpr41
                                        ; implicit-def: $sgpr39
                                        ; implicit-def: $sgpr43
                                        ; implicit-def: $sgpr44
                                        ; implicit-def: $sgpr40
                                        ; implicit-def: $sgpr42
                                        ; implicit-def: $sgpr45
                                        ; implicit-def: $sgpr51
                                        ; implicit-def: $sgpr50
                                        ; implicit-def: $sgpr49
                                        ; implicit-def: $sgpr53
                                        ; implicit-def: $sgpr58
                                        ; implicit-def: $sgpr54
                                        ; implicit-def: $sgpr55
                                        ; implicit-def: $sgpr59
                                        ; implicit-def: $sgpr60
                                        ; implicit-def: $sgpr56
                                        ; implicit-def: $sgpr57
                                        ; implicit-def: $sgpr61
	v_mov_b32_e32 v58, v57
	s_mul_i32 s5, s2, s3
	v_mov_b32_e32 v60, v57
	s_abs_i32 s5, s5
	v_mov_b32_e32 v64, v57
	v_cvt_f32_u32_e32 v1, s5
	s_sub_i32 s7, 0, s5
	v_mov_b32_e32 v33, v57
	v_mov_b32_e32 v50, v57
	;; [unrolled: 1-line block ×3, first 2 shown]
	v_rcp_iflag_f32_e32 v1, v1
	v_mov_b32_e32 v59, v57
	v_mov_b32_e32 v52, v57
	;; [unrolled: 1-line block ×9, first 2 shown]
	v_mul_f32_e32 v1, 0x4f7ffffe, v1
	v_mov_b32_e32 v51, v57
	v_mov_b32_e32 v30, v57
	v_mov_b32_e32 v32, v57
	v_mov_b32_e32 v42, v57
	v_cvt_u32_f32_e32 v1, v1
	v_mov_b32_e32 v53, v57
	v_mov_b32_e32 v55, v57
	;; [unrolled: 1-line block ×4, first 2 shown]
	v_readfirstlane_b32 s6, v1
	v_mov_b32_e32 v27, v57
	v_mov_b32_e32 v29, v57
	;; [unrolled: 1-line block ×4, first 2 shown]
	s_mul_i32 s7, s7, s6
	v_mov_b32_e32 v48, v57
	s_mul_hi_u32 s7, s6, s7
	v_mov_b32_e32 v41, v57
	s_add_i32 s6, s6, s7
	v_mov_b32_e32 v34, v57
	s_mul_hi_u32 s6, s8, s6
	v_mov_b32_e32 v43, v57
	s_mul_i32 s6, s6, s5
	v_mov_b32_e32 v47, v57
	s_sub_i32 s7, s8, s6
	s_ashr_i32 s6, s15, 31
	s_sub_i32 s8, s7, s5
	s_cmp_ge_u32 s7, s5
	v_mov_b32_e32 v20, v57
	s_cselect_b32 s7, s8, s7
	v_mov_b32_e32 v22, v57
	s_sub_i32 s8, s7, s5
	s_cmp_ge_u32 s7, s5
	v_mov_b32_e32 v24, v57
	s_cselect_b32 s7, s8, s7
	s_abs_i32 s5, s2
	s_xor_b32 s7, s7, s6
	v_cvt_f32_u32_e32 v1, s5
	s_sub_i32 s10, 0, s5
	s_sub_i32 s6, s7, s6
	v_mov_b32_e32 v37, v57
	v_mov_b32_e32 v39, v57
	v_rcp_iflag_f32_e32 v1, v1
	v_mov_b32_e32 v35, v57
	v_mov_b32_e32 v21, v57
	s_waitcnt_depctr 0xfff
	v_mul_f32_e32 v1, 0x4f7ffffe, v1
	s_delay_alu instid0(VALU_DEP_1) | instskip(NEXT) | instid1(VALU_DEP_1)
	v_cvt_u32_f32_e32 v1, v1
	v_readfirstlane_b32 s8, v1
	s_delay_alu instid0(VALU_DEP_1) | instskip(NEXT) | instid1(SALU_CYCLE_1)
	s_mul_i32 s10, s10, s8
	s_mul_hi_u32 s7, s8, s10
	s_abs_i32 s10, s6
	s_add_i32 s8, s8, s7
	s_delay_alu instid0(SALU_CYCLE_1)
	s_mul_hi_u32 s7, s10, s8
	s_xor_b32 s8, s6, s2
	s_mul_i32 s11, s7, s5
	s_ashr_i32 s8, s8, 31
	s_sub_i32 s10, s10, s11
	s_add_i32 s11, s7, 1
	s_sub_i32 s12, s10, s5
	s_cmp_ge_u32 s10, s5
	s_cselect_b32 s7, s11, s7
	s_cselect_b32 s10, s12, s10
	s_add_i32 s11, s7, 1
	s_cmp_ge_u32 s10, s5
	s_cselect_b32 s5, s11, s7
	s_abs_i32 s7, s9
	s_abs_i32 s12, s3
	v_cvt_f32_u32_e32 v1, s7
	s_sub_i32 s11, 0, s7
	s_xor_b32 s5, s5, s8
	s_ashr_i32 s4, s4, 31
	s_sub_i32 s8, s5, s8
	v_rcp_iflag_f32_e32 v1, v1
	s_waitcnt_depctr 0xfff
	v_mul_f32_e32 v1, 0x4f7ffffe, v1
	s_delay_alu instid0(VALU_DEP_1) | instskip(NEXT) | instid1(VALU_DEP_1)
	v_cvt_u32_f32_e32 v1, v1
	v_readfirstlane_b32 s10, v1
	s_delay_alu instid0(VALU_DEP_1) | instskip(NEXT) | instid1(SALU_CYCLE_1)
	s_mul_i32 s11, s11, s10
	s_mul_hi_u32 s11, s10, s11
	s_delay_alu instid0(SALU_CYCLE_1) | instskip(NEXT) | instid1(SALU_CYCLE_1)
	s_add_i32 s10, s10, s11
	s_mul_hi_u32 s11, s12, s10
	s_delay_alu instid0(SALU_CYCLE_1) | instskip(NEXT) | instid1(SALU_CYCLE_1)
	s_mul_i32 s11, s11, s7
	s_sub_i32 s11, s12, s11
	s_delay_alu instid0(SALU_CYCLE_1) | instskip(SKIP_2) | instid1(SALU_CYCLE_1)
	s_sub_i32 s5, s11, s7
	s_cmp_ge_u32 s11, s7
	s_cselect_b32 s5, s5, s11
	s_sub_i32 s11, s5, s7
	s_cmp_ge_u32 s5, s7
	s_cselect_b32 s5, s11, s5
	s_delay_alu instid0(SALU_CYCLE_1) | instskip(NEXT) | instid1(SALU_CYCLE_1)
	s_xor_b32 s5, s5, s4
	s_sub_i32 s4, s5, s4
	s_mul_i32 s5, s8, s2
	s_sub_i32 s3, s3, s4
	s_delay_alu instid0(SALU_CYCLE_1)
	s_cmp_lt_i32 s8, s3
	s_cselect_b32 s9, s9, s4
	s_abs_i32 s3, s8
	s_ashr_i32 s11, s8, 31
	s_mul_hi_u32 s4, s3, s10
	s_sub_i32 s10, s6, s5
	s_mul_i32 s4, s4, s7
	s_delay_alu instid0(SALU_CYCLE_1) | instskip(NEXT) | instid1(SALU_CYCLE_1)
	s_sub_i32 s3, s3, s4
	s_sub_i32 s4, s3, s7
	s_cmp_ge_u32 s3, s7
	s_cselect_b32 s3, s4, s3
	s_delay_alu instid0(SALU_CYCLE_1)
	s_sub_i32 s4, s3, s7
	s_cmp_ge_u32 s3, s7
	s_cselect_b32 s3, s4, s3
	s_abs_i32 s14, s9
	s_xor_b32 s15, s3, s11
	v_cvt_f32_u32_e32 v1, s14
	s_sub_i32 s11, s15, s11
	s_sub_i32 s15, 0, s14
	s_mul_i32 s2, s11, s2
	s_clause 0x1
	s_load_b128 s[4:7], s[0:1], 0x0
	s_load_b64 s[12:13], s[0:1], 0x18
	v_rcp_iflag_f32_e32 v1, v1
	s_add_i32 s2, s2, s10
	s_clause 0x7
	s_load_b32 s35, s[0:1], 0x28
	s_load_b32 s36, s[0:1], 0x34
	;; [unrolled: 1-line block ×8, first 2 shown]
	s_waitcnt_depctr 0xfff
	v_mul_f32_e32 v1, 0x4f7ffffe, v1
	s_delay_alu instid0(VALU_DEP_1) | instskip(SKIP_3) | instid1(VALU_DEP_1)
	v_cvt_u32_f32_e32 v1, v1
	s_waitcnt lgkmcnt(0)
	s_mov_b32 s24, s6
	s_mov_b32 s25, s7
	v_readfirstlane_b32 s18, v1
	v_lshlrev_b32_e32 v1, 1, v0
	s_delay_alu instid0(VALU_DEP_2) | instskip(NEXT) | instid1(VALU_DEP_1)
	s_mul_i32 s15, s15, s18
	v_and_b32_e32 v1, 6, v1
	s_mul_hi_u32 s10, s18, s15
	s_abs_i32 s15, s2
	s_add_i32 s18, s18, s10
	s_delay_alu instid0(SALU_CYCLE_1)
	s_mul_hi_u32 s10, s15, s18
	s_xor_b32 s18, s2, s9
	s_mul_i32 s19, s10, s14
	s_ashr_i32 s20, s18, 31
	s_sub_i32 s15, s15, s19
	s_add_i32 s18, s10, 1
	s_sub_i32 s19, s15, s14
	s_cmp_ge_u32 s15, s14
	v_lshlrev_b32_e32 v5, 3, v1
	s_cselect_b32 s10, s18, s10
	s_cselect_b32 s15, s19, s15
	s_add_i32 s21, s10, 1
	s_cmp_ge_u32 s15, s14
	s_clause 0x7
	s_load_b32 s26, s[0:1], 0xa8
	s_load_b32 s30, s[0:1], 0xb8
	;; [unrolled: 1-line block ×4, first 2 shown]
	s_load_b64 s[14:15], s[0:1], 0xf8
	s_load_b32 s29, s[0:1], 0x108
	s_load_b32 s18, s[0:1], 0x114
	;; [unrolled: 1-line block ×3, first 2 shown]
	s_cselect_b32 s10, s21, s10
	s_sub_i32 s34, s8, s11
	s_xor_b32 s10, s10, s20
	s_mov_b32 s21, s5
	s_sub_i32 s10, s10, s20
	s_mov_b32 s20, s4
	s_waitcnt lgkmcnt(0)
	s_lshl_b32 s15, s10, 6
	s_mul_i32 s10, s10, s9
	v_add_nc_u32_e32 v4, s15, v2
	s_sub_i32 s2, s2, s10
	s_lshl_b32 s22, s22, 1
	s_add_i32 s34, s34, s2
	s_lshl_b32 s26, s26, 1
	s_lshl_b32 s2, s34, 7
	v_mul_lo_u32 v6, v4, s3
	v_add_nc_u32_e32 v7, s2, v3
	s_mul_i32 s2, s35, -3
	v_lshlrev_b32_e32 v2, 3, v2
	v_cmp_gt_i32_e64 s4, s47, v5
	v_cmp_gt_i32_e32 vcc_lo, s37, v4
	v_mul_lo_u32 v9, v7, s35
	v_lshlrev_b32_e32 v3, 3, v3
	v_add_nc_u32_e32 v8, v6, v5
	v_cmp_gt_i32_e64 s7, s46, v5
	s_and_b32 s75, s4, vcc_lo
	v_or_b32_e32 v172, 0xc8, v5
	v_lshlrev_b32_e32 v173, 1, v6
	v_add_nc_u32_e32 v11, 8, v8
	v_add_nc_u32_e32 v14, v9, v5
	v_lshlrev_b32_e32 v10, 1, v8
	v_add_lshl_u32 v12, v8, s3, 1
	v_add_nc_u32_e32 v13, 64, v8
	v_lshlrev_b32_e32 v15, 1, v11
	v_add_nc_u32_e32 v19, s35, v14
	v_add_lshl_u32 v11, v11, s3, 1
	v_lshlrev_b32_e32 v18, 1, v14
	v_add_nc_u32_e32 v14, 8, v14
	s_clause 0x3
	buffer_load_b128 v[69:72], v10, s[24:27], 0 offen
	buffer_load_b128 v[65:68], v15, s[24:27], 0 offen
	;; [unrolled: 1-line block ×4, first 2 shown]
	v_add_nc_u32_e32 v10, s35, v19
	v_add_nc_u32_e32 v8, 0x48, v8
	v_lshlrev_b32_e32 v16, 1, v13
	v_add_lshl_u32 v12, v14, s35, 1
	v_lshlrev_b32_e32 v11, 1, v14
	v_add_nc_u32_e32 v15, s35, v10
	v_lshlrev_b32_e32 v17, 1, v8
	v_lshlrev_b32_e32 v14, 1, v19
	s_clause 0x1
	buffer_load_b128 v[93:96], v16, s[24:27], 0 offen
	buffer_load_b128 v[89:92], v17, s[24:27], 0 offen
	s_clause 0x1
	buffer_load_b128 v[153:156], v18, s[20:23], 0 offen
	buffer_load_b128 v[137:140], v11, s[20:23], 0 offen
	v_add_nc_u32_e32 v11, 8, v10
	s_clause 0x1
	buffer_load_b128 v[81:84], v12, s[20:23], 0 offen
	buffer_load_b128 v[145:148], v14, s[20:23], 0 offen
	v_add3_u32 v12, s2, 64, v15
	v_lshlrev_b32_e32 v10, 1, v10
	v_lshlrev_b32_e32 v15, 1, v15
	;; [unrolled: 1-line block ×3, first 2 shown]
	v_add_lshl_u32 v11, v11, s35, 1
	v_add_nc_u32_e32 v16, s35, v12
	s_clause 0x3
	buffer_load_b128 v[157:160], v10, s[20:23], 0 offen
	buffer_load_b128 v[141:144], v14, s[20:23], 0 offen
	;; [unrolled: 1-line block ×4, first 2 shown]
	v_add_nc_u32_e32 v11, s35, v16
	v_add_nc_u32_e32 v10, 8, v12
	v_lshlrev_b32_e32 v12, 1, v12
	v_lshlrev_b32_e32 v15, 1, v16
	v_add_lshl_u32 v8, v8, s3, 1
	v_add_nc_u32_e32 v16, 8, v11
	v_lshlrev_b32_e32 v14, 1, v10
	v_add_lshl_u32 v10, v10, s35, 1
	v_lshlrev_b32_e32 v17, 1, v11
	s_clause 0x1
	buffer_load_b128 v[133:136], v12, s[20:23], 0 offen
	buffer_load_b128 v[117:120], v14, s[20:23], 0 offen
	v_lshlrev_b32_e32 v12, 1, v16
	v_add_lshl_u32 v14, v16, s35, 1
	v_add_lshl_u32 v13, v13, s3, 1
	;; [unrolled: 1-line block ×3, first 2 shown]
	s_clause 0x5
	buffer_load_b128 v[113:116], v10, s[20:23], 0 offen
	buffer_load_b128 v[129:132], v15, s[20:23], 0 offen
	;; [unrolled: 1-line block ×6, first 2 shown]
	s_clause 0x1
	buffer_load_b128 v[97:100], v8, s[24:27], 0 offen
	buffer_load_b128 v[101:104], v13, s[24:27], 0 offen
	v_and_b32_e32 v10, 3, v0
	v_bfe_u32 v8, v0, 1, 3
	s_ashr_i32 s2, s38, 31
	v_dual_mov_b32 v18, v57 :: v_dual_lshlrev_b32 v11, 8, v164
	s_delay_alu instid0(VALU_DEP_3)
	v_lshlrev_b32_e32 v171, 5, v10
	v_mul_u32_u24_e32 v10, 0x408, v1
	v_mul_u32_u24_e32 v1, 0x208, v1
	v_and_or_b32 v8, v162, 8, v8
	s_lshr_b32 s2, s2, 29
	v_or_b32_e32 v13, 0x48, v5
	s_add_i32 s38, s38, s2
	v_add_lshl_u32 v168, v1, v2, 1
	v_add_nc_u32_e32 v1, 1, v4
	v_add_nc_u32_e32 v2, 1, v7
	v_lshl_or_b32 v166, v8, 4, v11
	v_or_b32_e32 v8, 8, v5
	v_or_b32_e32 v11, 64, v5
	v_cmp_gt_i32_e64 s2, s37, v1
	v_add_lshl_u32 v169, v10, v3, 1
	v_add_nc_u32_e32 v3, 2, v7
	v_cmp_gt_i32_e64 s5, s47, v8
	v_cmp_gt_i32_e64 s6, s47, v11
	s_and_b32 s74, s4, s2
	v_cmp_gt_i32_e64 s4, s36, v2
	v_mul_lo_u32 v2, s35, v2
	v_add_nc_u32_e32 v4, 3, v7
	s_and_b32 s72, s5, vcc_lo
	s_and_b32 s65, s6, vcc_lo
	v_mul_lo_u32 v1, s3, v1
	s_and_b32 s73, s5, s2
	s_and_b32 s63, s6, s2
	v_cmp_gt_i32_e64 s6, s36, v4
	v_mul_lo_u32 v4, s35, v4
	v_lshlrev_b32_e32 v178, 1, v2
	v_mov_b32_e32 v2, v57
	v_cmp_gt_i32_e64 s5, s36, v3
	v_mul_lo_u32 v3, s35, v3
	v_or_b32_e32 v12, v165, v163
	v_cmp_gt_i32_e64 s8, s46, v8
	v_cmp_gt_i32_e64 s9, s46, v11
	;; [unrolled: 1-line block ×5, first 2 shown]
	v_lshlrev_b32_e32 v167, 4, v12
	v_add_nc_u32_e32 v170, 0x4070, v168
	v_dual_mov_b32 v17, v57 :: v_dual_lshlrev_b32 v174, 1, v1
	v_dual_mov_b32 v6, v57 :: v_dual_lshlrev_b32 v175, 1, v9
	;; [unrolled: 1-line block ×4, first 2 shown]
	v_mov_b32_e32 v1, v57
	v_mov_b32_e32 v3, v57
	;; [unrolled: 1-line block ×13, first 2 shown]
	s_ashr_i32 s52, s38, 3
	s_and_b32 s64, s11, vcc_lo
	s_add_i32 s52, s52, -2
	s_and_b32 s62, s11, s2
	s_and_b32 s80, s7, s3
	;; [unrolled: 1-line block ×17, first 2 shown]
                                        ; implicit-def: $sgpr37
                                        ; implicit-def: $sgpr36
                                        ; implicit-def: $sgpr11
                                        ; implicit-def: $sgpr35
                                        ; implicit-def: $sgpr38
.LBB1_1:                                ; =>This Inner Loop Header: Depth=1
	s_waitcnt vmcnt(17)
	v_cndmask_b32_e64 v156, 0, v156, s80
	v_cndmask_b32_e64 v155, 0, v155, s80
	;; [unrolled: 1-line block ×12, first 2 shown]
	s_waitcnt vmcnt(14)
	v_cndmask_b32_e64 v148, 0, v148, s83
	v_cndmask_b32_e64 v147, 0, v147, s83
	;; [unrolled: 1-line block ×12, first 2 shown]
	v_add_nc_u32_e32 v179, v171, v175
	v_add_nc_u32_e32 v180, v171, v178
	;; [unrolled: 1-line block ×4, first 2 shown]
	s_waitcnt vmcnt(13)
	v_cndmask_b32_e64 v160, 0, v160, s81
	v_cndmask_b32_e64 v159, 0, v159, s81
	;; [unrolled: 1-line block ×4, first 2 shown]
	s_waitcnt vmcnt(10)
	v_cndmask_b32_e64 v152, 0, v152, s82
	v_cndmask_b32_e64 v151, 0, v151, s82
	;; [unrolled: 1-line block ×4, first 2 shown]
	v_add_nc_u32_e32 v183, v171, v173
	v_cndmask_b32_e64 v88, 0, v88, s76
	v_cndmask_b32_e64 v87, 0, v87, s76
	;; [unrolled: 1-line block ×16, first 2 shown]
	ds_store_b128 v169, v[153:156]
	ds_store_b128 v169, v[145:148] offset:16
	ds_store_b128 v169, v[157:160] offset:32
	;; [unrolled: 1-line block ×11, first 2 shown]
	v_add_nc_u32_e32 v184, v171, v174
	s_clause 0x7
	buffer_load_b128 v[153:156], v179, s[20:23], 0 offen offset:256
	buffer_load_b128 v[137:140], v179, s[20:23], 0 offen offset:272
	;; [unrolled: 1-line block ×8, first 2 shown]
	s_clause 0x3
	buffer_load_b128 v[69:72], v183, s[24:27], 0 offen offset:256
	buffer_load_b128 v[65:68], v183, s[24:27], 0 offen offset:272
	;; [unrolled: 1-line block ×4, first 2 shown]
	s_waitcnt vmcnt(0) lgkmcnt(0)
	s_barrier
	ds_load_b128 v[185:188], v167 offset:16496
	ds_load_b128 v[189:192], v167 offset:17536
	ds_load_b128 v[193:196], v166
	ds_load_b128 v[201:204], v166 offset:512
	ds_load_b128 v[197:200], v166 offset:2064
	;; [unrolled: 1-line block ×9, first 2 shown]
	s_and_not1_b32 s57, s57, exec_lo
	s_and_not1_b32 s60, s60, exec_lo
	;; [unrolled: 1-line block ×11, first 2 shown]
	v_add_nc_u32_e32 v174, 0x100, v174
	s_waitcnt lgkmcnt(7)
	v_wmma_f32_16x16x16_f16 v[57:64], v[193:200], v[185:192], v[57:64]
	s_waitcnt lgkmcnt(6)
	v_wmma_f32_16x16x16_f16 v[25:32], v[201:208], v[185:192], v[25:32]
	v_add_nc_u32_e32 v173, 0x100, v173
	v_add_nc_u32_e32 v176, 0x100, v176
	s_waitcnt lgkmcnt(3)
	v_wmma_f32_16x16x16_f16 v[33:40], v[209:216], v[185:192], v[33:40]
	s_waitcnt lgkmcnt(2)
	v_wmma_f32_16x16x16_f16 v[1:8], v[217:224], v[185:192], v[1:8]
	v_add_nc_u32_e32 v177, 0x100, v177
	s_waitcnt lgkmcnt(0)
	v_wmma_f32_16x16x16_f16 v[49:56], v[193:200], v[225:232], v[49:56]
	v_wmma_f32_16x16x16_f16 v[41:48], v[201:208], v[225:232], v[41:48]
	;; [unrolled: 1-line block ×4, first 2 shown]
	ds_load_b128 v[185:188], v167 offset:18576
	ds_load_b128 v[189:192], v167 offset:19616
	;; [unrolled: 1-line block ×12, first 2 shown]
	v_add_nc_u32_e32 v178, 0x100, v178
	v_add_nc_u32_e32 v175, 0x100, v175
	s_and_not1_b32 s37, s37, exec_lo
	s_add_i32 s48, s48, 2
	s_waitcnt lgkmcnt(7)
	v_wmma_f32_16x16x16_f16 v[57:64], v[193:200], v[185:192], v[57:64]
	s_waitcnt lgkmcnt(6)
	v_wmma_f32_16x16x16_f16 v[25:32], v[201:208], v[185:192], v[25:32]
	;; [unrolled: 2-line block ×5, first 2 shown]
	v_wmma_f32_16x16x16_f16 v[41:48], v[201:208], v[225:232], v[41:48]
	v_wmma_f32_16x16x16_f16 v[17:24], v[209:216], v[225:232], v[17:24]
	;; [unrolled: 1-line block ×3, first 2 shown]
	ds_load_b128 v[185:188], v167 offset:20656
	ds_load_b128 v[189:192], v167 offset:21696
	;; [unrolled: 1-line block ×12, first 2 shown]
	s_waitcnt lgkmcnt(7)
	v_wmma_f32_16x16x16_f16 v[57:64], v[193:200], v[185:192], v[57:64]
	s_waitcnt lgkmcnt(6)
	v_wmma_f32_16x16x16_f16 v[25:32], v[201:208], v[185:192], v[25:32]
	;; [unrolled: 2-line block ×5, first 2 shown]
	v_wmma_f32_16x16x16_f16 v[41:48], v[201:208], v[225:232], v[41:48]
	v_wmma_f32_16x16x16_f16 v[17:24], v[209:216], v[225:232], v[17:24]
	;; [unrolled: 1-line block ×3, first 2 shown]
	ds_load_b128 v[185:188], v167 offset:22736
	ds_load_b128 v[189:192], v167 offset:23776
	;; [unrolled: 1-line block ×12, first 2 shown]
	s_waitcnt lgkmcnt(0)
	s_barrier
	v_wmma_f32_16x16x16_f16 v[57:64], v[193:200], v[185:192], v[57:64]
	v_wmma_f32_16x16x16_f16 v[25:32], v[201:208], v[185:192], v[25:32]
	;; [unrolled: 1-line block ×4, first 2 shown]
	v_cndmask_b32_e64 v188, 0, v136, s68
	v_wmma_f32_16x16x16_f16 v[49:56], v[193:200], v[225:232], v[49:56]
	v_wmma_f32_16x16x16_f16 v[41:48], v[201:208], v[225:232], v[41:48]
	;; [unrolled: 1-line block ×4, first 2 shown]
	v_cndmask_b32_e64 v187, 0, v135, s68
	v_cndmask_b32_e64 v186, 0, v134, s68
	;; [unrolled: 1-line block ×47, first 2 shown]
	s_clause 0x7
	buffer_load_b128 v[133:136], v179, s[20:23], 0 offen offset:384
	buffer_load_b128 v[117:120], v179, s[20:23], 0 offen offset:400
	;; [unrolled: 1-line block ×8, first 2 shown]
	s_clause 0x3
	buffer_load_b128 v[93:96], v183, s[24:27], 0 offen offset:384
	buffer_load_b128 v[89:92], v183, s[24:27], 0 offen offset:400
	;; [unrolled: 1-line block ×4, first 2 shown]
	ds_store_b128 v169, v[185:188]
	ds_store_b128 v169, v[189:192] offset:16
	ds_store_b128 v169, v[193:196] offset:32
	;; [unrolled: 1-line block ×11, first 2 shown]
	s_waitcnt vmcnt(0) lgkmcnt(0)
	s_barrier
	ds_load_b128 v[179:182], v167 offset:16496
	ds_load_b128 v[183:186], v167 offset:17536
	ds_load_b128 v[187:190], v166
	ds_load_b128 v[195:198], v166 offset:512
	ds_load_b128 v[191:194], v166 offset:2064
	;; [unrolled: 1-line block ×9, first 2 shown]
	v_subrev_nc_u32_e32 v228, 64, v172
	v_add_nc_u32_e32 v227, 0xffffffb8, v172
	v_cmp_gt_i32_e64 s10, s46, v172
	s_delay_alu instid0(VALU_DEP_3) | instskip(NEXT) | instid1(VALU_DEP_3)
	v_cmp_gt_i32_e64 s8, s46, v228
	v_cmp_gt_i32_e64 s9, s47, v227
	;; [unrolled: 1-line block ×3, first 2 shown]
	s_delay_alu instid0(VALU_DEP_4)
	s_and_b32 s66, s3, s10
	s_and_b32 s67, s4, s10
	;; [unrolled: 1-line block ×4, first 2 shown]
	s_waitcnt lgkmcnt(7)
	v_wmma_f32_16x16x16_f16 v[57:64], v[187:194], v[179:186], v[57:64]
	s_waitcnt lgkmcnt(6)
	v_wmma_f32_16x16x16_f16 v[25:32], v[195:202], v[179:186], v[25:32]
	s_and_b32 s78, s5, s8
	s_and_b32 s76, s6, s8
	s_waitcnt lgkmcnt(3)
	v_wmma_f32_16x16x16_f16 v[33:40], v[203:210], v[179:186], v[33:40]
	s_waitcnt lgkmcnt(2)
	v_wmma_f32_16x16x16_f16 v[1:8], v[211:218], v[179:186], v[1:8]
	v_cmp_gt_i32_e64 s8, s47, v228
	s_waitcnt lgkmcnt(0)
	v_wmma_f32_16x16x16_f16 v[49:56], v[187:194], v[219:226], v[49:56]
	v_wmma_f32_16x16x16_f16 v[41:48], v[195:202], v[219:226], v[41:48]
	;; [unrolled: 1-line block ×4, first 2 shown]
	ds_load_b128 v[179:182], v167 offset:18576
	ds_load_b128 v[183:186], v167 offset:19616
	;; [unrolled: 1-line block ×12, first 2 shown]
	s_and_b32 s75, vcc_lo, s9
	s_and_b32 s72, vcc_lo, s8
	s_and_b32 s73, s2, s8
	s_and_b32 s74, s2, s9
	v_cmp_gt_i32_e64 s9, s47, v172
	s_and_b32 s80, s3, s7
	s_and_b32 s83, s4, s7
	s_and_b32 s84, s77, exec_lo
	s_and_b32 s81, s5, s7
	s_and_b32 s64, vcc_lo, s9
	s_and_b32 s62, s2, s9
	s_and_b32 s9, s80, exec_lo
	s_waitcnt lgkmcnt(7)
	v_wmma_f32_16x16x16_f16 v[57:64], v[187:194], v[179:186], v[57:64]
	s_waitcnt lgkmcnt(6)
	v_wmma_f32_16x16x16_f16 v[25:32], v[195:202], v[179:186], v[25:32]
	s_or_b32 s57, s57, s84
	s_and_b32 s84, s83, exec_lo
	s_waitcnt lgkmcnt(3)
	v_wmma_f32_16x16x16_f16 v[33:40], v[203:210], v[179:186], v[33:40]
	s_waitcnt lgkmcnt(2)
	v_wmma_f32_16x16x16_f16 v[1:8], v[211:218], v[179:186], v[1:8]
	s_and_b32 s82, s6, s7
	s_waitcnt lgkmcnt(0)
	v_wmma_f32_16x16x16_f16 v[49:56], v[187:194], v[219:226], v[49:56]
	v_wmma_f32_16x16x16_f16 v[41:48], v[195:202], v[219:226], v[41:48]
	;; [unrolled: 1-line block ×4, first 2 shown]
	ds_load_b128 v[179:182], v167 offset:20656
	ds_load_b128 v[183:186], v167 offset:21696
	;; [unrolled: 1-line block ×12, first 2 shown]
	s_or_b32 s60, s60, s84
	s_and_b32 s84, s78, exec_lo
	s_and_b32 s71, s5, s10
	s_or_b32 s55, s55, s84
	s_and_b32 s84, s82, exec_lo
	s_and_b32 s10, s6, s10
	s_or_b32 s58, s58, s84
	s_and_b32 s84, s72, exec_lo
	s_delay_alu instid0(SALU_CYCLE_1)
	s_or_b32 s49, s49, s84
	s_and_b32 s84, s74, exec_lo
	s_waitcnt lgkmcnt(7)
	v_wmma_f32_16x16x16_f16 v[57:64], v[187:194], v[179:186], v[57:64]
	s_waitcnt lgkmcnt(6)
	v_wmma_f32_16x16x16_f16 v[25:32], v[195:202], v[179:186], v[25:32]
	s_or_b32 s51, s51, s84
	s_and_b32 s84, s66, exec_lo
	s_waitcnt lgkmcnt(3)
	v_wmma_f32_16x16x16_f16 v[33:40], v[203:210], v[179:186], v[33:40]
	s_waitcnt lgkmcnt(2)
	v_wmma_f32_16x16x16_f16 v[1:8], v[211:218], v[179:186], v[1:8]
	s_or_b32 s42, s42, s84
	s_waitcnt lgkmcnt(0)
	v_wmma_f32_16x16x16_f16 v[49:56], v[187:194], v[219:226], v[49:56]
	v_wmma_f32_16x16x16_f16 v[41:48], v[195:202], v[219:226], v[41:48]
	;; [unrolled: 1-line block ×4, first 2 shown]
	ds_load_b128 v[179:182], v167 offset:22736
	ds_load_b128 v[183:186], v167 offset:23776
	ds_load_b128 v[187:190], v166 offset:12384
	ds_load_b128 v[195:198], v166 offset:12896
	ds_load_b128 v[191:194], v166 offset:14448
	ds_load_b128 v[199:202], v166 offset:14960
	ds_load_b128 v[203:206], v166 offset:13408
	ds_load_b128 v[211:214], v166 offset:13920
	ds_load_b128 v[207:210], v166 offset:15472
	ds_load_b128 v[215:218], v166 offset:15984
	ds_load_b128 v[219:222], v167 offset:23248
	ds_load_b128 v[223:226], v167 offset:24288
	s_waitcnt lgkmcnt(0)
	s_barrier
	v_wmma_f32_16x16x16_f16 v[57:64], v[187:194], v[179:186], v[57:64]
	v_wmma_f32_16x16x16_f16 v[25:32], v[195:202], v[179:186], v[25:32]
	;; [unrolled: 1-line block ×4, first 2 shown]
	v_add_nc_u32_e32 v179, -8, v172
	v_wmma_f32_16x16x16_f16 v[49:56], v[187:194], v[219:226], v[49:56]
	v_wmma_f32_16x16x16_f16 v[41:48], v[195:202], v[219:226], v[41:48]
	;; [unrolled: 1-line block ×4, first 2 shown]
	v_cmp_gt_i32_e64 s8, s47, v179
	v_cmp_gt_i32_e64 s7, s46, v179
	v_add_nc_u32_e32 v172, 0x80, v172
	s_delay_alu instid0(VALU_DEP_3)
	s_and_b32 s65, vcc_lo, s8
	s_and_b32 s63, s2, s8
	s_and_not1_b32 s8, s61, exec_lo
	s_and_b32 s68, s3, s7
	s_or_b32 s61, s8, s9
	s_and_not1_b32 s8, s56, exec_lo
	s_and_b32 s9, s79, exec_lo
	s_and_b32 s70, s4, s7
	s_or_b32 s56, s8, s9
	s_and_not1_b32 s8, s59, exec_lo
	s_and_b32 s9, s81, exec_lo
	;; [unrolled: 4-line block ×3, first 2 shown]
	s_and_b32 s84, s70, exec_lo
	s_or_b32 s54, s8, s9
	s_and_not1_b32 s8, s53, exec_lo
	s_and_b32 s9, s75, exec_lo
	s_and_b32 s7, s6, s7
	s_or_b32 s53, s8, s9
	s_and_not1_b32 s8, s50, exec_lo
	s_and_b32 s9, s73, exec_lo
	s_or_b32 s44, s44, s84
	s_or_b32 s50, s8, s9
	s_and_not1_b32 s8, s45, exec_lo
	s_and_b32 s9, s68, exec_lo
	s_and_b32 s84, s71, exec_lo
	s_or_b32 s45, s8, s9
	s_and_not1_b32 s8, s40, exec_lo
	s_and_b32 s9, s67, exec_lo
	s_or_b32 s39, s39, s84
	s_or_b32 s40, s8, s9
	s_and_not1_b32 s8, s43, exec_lo
	s_and_b32 s9, s69, exec_lo
	s_and_b32 s84, s7, exec_lo
	;; [unrolled: 8-line block ×3, first 2 shown]
	s_or_b32 s35, s8, s9
	s_or_b32 s11, s11, s84
	s_and_not1_b32 s8, s36, exec_lo
	s_and_b32 s9, s62, exec_lo
	s_and_b32 s84, s63, exec_lo
	s_or_b32 s36, s8, s9
	s_or_b32 s37, s37, s84
	s_cmp_lt_i32 s48, s52
	s_cbranch_scc1 .LBB1_1
; %bb.2:
	v_cndmask_b32_e64 v156, 0, v156, s61
	v_cndmask_b32_e64 v155, 0, v155, s61
	;; [unrolled: 1-line block ×48, first 2 shown]
	ds_store_b128 v169, v[153:156]
	ds_store_b128 v169, v[145:148] offset:16
	ds_store_b128 v169, v[157:160] offset:32
	;; [unrolled: 1-line block ×11, first 2 shown]
	s_waitcnt lgkmcnt(0)
	s_barrier
	ds_load_b128 v[81:84], v166 offset:512
	ds_load_b128 v[85:88], v166 offset:2576
	;; [unrolled: 1-line block ×6, first 2 shown]
	ds_load_b128 v[137:140], v166
	ds_load_b128 v[141:144], v166 offset:2064
	v_cndmask_b32_e64 v108, 0, v108, s38
	v_cndmask_b32_e64 v107, 0, v107, s38
	;; [unrolled: 1-line block ×8, first 2 shown]
	s_load_b64 s[8:9], s[0:1], 0x10
	s_lshl_b32 s10, s14, 1
	s_lshl_b32 s14, s28, 1
	;; [unrolled: 1-line block ×4, first 2 shown]
	s_waitcnt lgkmcnt(0)
	v_wmma_f32_16x16x16_f16 v[41:48], v[81:88], v[73:80], v[41:48]
	v_wmma_f32_16x16x16_f16 v[25:32], v[81:88], v[65:72], v[25:32]
	ds_load_b128 v[149:152], v166 offset:3088
	ds_load_b128 v[145:148], v166 offset:1024
	;; [unrolled: 1-line block ×4, first 2 shown]
	v_wmma_f32_16x16x16_f16 v[49:56], v[137:144], v[73:80], v[49:56]
	v_wmma_f32_16x16x16_f16 v[57:64], v[137:144], v[65:72], v[57:64]
	s_waitcnt lgkmcnt(2)
	v_wmma_f32_16x16x16_f16 v[17:24], v[145:152], v[73:80], v[17:24]
	v_wmma_f32_16x16x16_f16 v[33:40], v[145:152], v[65:72], v[33:40]
	s_waitcnt lgkmcnt(0)
	v_wmma_f32_16x16x16_f16 v[9:16], v[81:88], v[73:80], v[9:16]
	v_wmma_f32_16x16x16_f16 v[1:8], v[81:88], v[65:72], v[1:8]
	ds_load_b128 v[65:68], v166 offset:4640
	ds_load_b128 v[69:72], v166 offset:6704
	ds_load_b128 v[77:80], v167 offset:20128
	ds_load_b128 v[73:76], v167 offset:19088
	ds_load_b128 v[81:84], v167 offset:18576
	ds_load_b128 v[85:88], v167 offset:19616
	ds_load_b128 v[137:140], v166 offset:4128
	ds_load_b128 v[141:144], v166 offset:6192
	s_waitcnt lgkmcnt(4)
	v_wmma_f32_16x16x16_f16 v[41:48], v[65:72], v[73:80], v[41:48]
	s_waitcnt lgkmcnt(2)
	v_wmma_f32_16x16x16_f16 v[25:32], v[65:72], v[81:88], v[25:32]
	ds_load_b128 v[69:72], v166 offset:7216
	ds_load_b128 v[65:68], v166 offset:5152
	ds_load_b128 v[145:148], v166 offset:5664
	ds_load_b128 v[149:152], v166 offset:7728
	s_waitcnt lgkmcnt(4)
	v_wmma_f32_16x16x16_f16 v[49:56], v[137:144], v[73:80], v[49:56]
	v_wmma_f32_16x16x16_f16 v[57:64], v[137:144], v[81:88], v[57:64]
	s_waitcnt lgkmcnt(2)
	v_wmma_f32_16x16x16_f16 v[17:24], v[65:72], v[73:80], v[17:24]
	v_wmma_f32_16x16x16_f16 v[33:40], v[65:72], v[81:88], v[33:40]
	s_waitcnt lgkmcnt(0)
	v_wmma_f32_16x16x16_f16 v[9:16], v[145:152], v[73:80], v[9:16]
	v_wmma_f32_16x16x16_f16 v[1:8], v[145:152], v[81:88], v[1:8]
	ds_load_b128 v[65:68], v166 offset:8768
	ds_load_b128 v[69:72], v166 offset:10832
	ds_load_b128 v[77:80], v167 offset:22208
	ds_load_b128 v[73:76], v167 offset:21168
	ds_load_b128 v[81:84], v167 offset:20656
	ds_load_b128 v[85:88], v167 offset:21696
	ds_load_b128 v[137:140], v166 offset:8256
	ds_load_b128 v[141:144], v166 offset:10320
	s_waitcnt lgkmcnt(4)
	v_wmma_f32_16x16x16_f16 v[41:48], v[65:72], v[73:80], v[41:48]
	s_waitcnt lgkmcnt(2)
	v_wmma_f32_16x16x16_f16 v[25:32], v[65:72], v[81:88], v[25:32]
	ds_load_b128 v[69:72], v166 offset:11344
	ds_load_b128 v[65:68], v166 offset:9280
	ds_load_b128 v[145:148], v166 offset:9792
	ds_load_b128 v[149:152], v166 offset:11856
	s_waitcnt lgkmcnt(4)
	;; [unrolled: 25-line block ×3, first 2 shown]
	v_wmma_f32_16x16x16_f16 v[49:56], v[137:144], v[73:80], v[49:56]
	v_wmma_f32_16x16x16_f16 v[57:64], v[137:144], v[81:88], v[57:64]
	s_waitcnt lgkmcnt(0)
	s_barrier
	v_wmma_f32_16x16x16_f16 v[17:24], v[65:72], v[73:80], v[17:24]
	v_wmma_f32_16x16x16_f16 v[33:40], v[65:72], v[81:88], v[33:40]
	v_cndmask_b32_e64 v68, 0, v136, s45
	v_cndmask_b32_e64 v67, 0, v135, s45
	v_cndmask_b32_e64 v66, 0, v134, s45
	v_cndmask_b32_e64 v65, 0, v133, s45
	v_cndmask_b32_e64 v72, 0, v132, s44
	v_cndmask_b32_e64 v71, 0, v131, s44
	v_cndmask_b32_e64 v70, 0, v130, s44
	v_cndmask_b32_e64 v69, 0, v129, s44
	v_wmma_f32_16x16x16_f16 v[9:16], v[145:152], v[73:80], v[9:16]
	v_cndmask_b32_e64 v76, 0, v128, s43
	v_cndmask_b32_e64 v75, 0, v127, s43
	v_cndmask_b32_e64 v74, 0, v126, s43
	v_cndmask_b32_e64 v73, 0, v125, s43
	v_cndmask_b32_e64 v80, 0, v124, s41
	v_cndmask_b32_e64 v79, 0, v123, s41
	v_cndmask_b32_e64 v78, 0, v122, s41
	v_cndmask_b32_e64 v77, 0, v121, s41
	;; [unrolled: 9-line block ×3, first 2 shown]
	ds_store_b128 v169, v[65:68]
	ds_store_b128 v169, v[69:72] offset:16
	ds_store_b128 v169, v[73:76] offset:32
	;; [unrolled: 1-line block ×7, first 2 shown]
	v_cndmask_b32_e64 v68, 0, v104, s37
	v_cndmask_b32_e64 v67, 0, v103, s37
	;; [unrolled: 1-line block ×8, first 2 shown]
	ds_store_b128 v170, v[65:68] offset:16
	v_cndmask_b32_e64 v68, 0, v96, s35
	v_cndmask_b32_e64 v67, 0, v95, s35
	;; [unrolled: 1-line block ×8, first 2 shown]
	ds_store_b128 v168, v[69:72] offset:17552
	ds_store_b128 v168, v[65:68] offset:16496
	ds_store_b128 v168, v[73:76] offset:17536
	s_waitcnt lgkmcnt(0)
	s_barrier
	ds_load_b128 v[65:68], v166 offset:512
	ds_load_b128 v[69:72], v166 offset:2576
	;; [unrolled: 1-line block ×6, first 2 shown]
	ds_load_b128 v[89:92], v166
	ds_load_b128 v[93:96], v166 offset:2064
	s_mov_b32 s11, 0x31004000
	s_waitcnt lgkmcnt(4)
	v_wmma_f32_16x16x16_f16 v[41:48], v[65:72], v[73:80], v[41:48]
	s_waitcnt lgkmcnt(2)
	v_wmma_f32_16x16x16_f16 v[25:32], v[65:72], v[81:88], v[25:32]
	ds_load_b128 v[69:72], v166 offset:3088
	ds_load_b128 v[65:68], v166 offset:1024
	ds_load_b128 v[97:100], v166 offset:1536
	ds_load_b128 v[101:104], v166 offset:3600
	s_waitcnt lgkmcnt(4)
	v_wmma_f32_16x16x16_f16 v[49:56], v[89:96], v[73:80], v[49:56]
	v_wmma_f32_16x16x16_f16 v[57:64], v[89:96], v[81:88], v[57:64]
	s_waitcnt lgkmcnt(2)
	v_wmma_f32_16x16x16_f16 v[17:24], v[65:72], v[73:80], v[17:24]
	v_wmma_f32_16x16x16_f16 v[33:40], v[65:72], v[81:88], v[33:40]
	s_waitcnt lgkmcnt(0)
	v_wmma_f32_16x16x16_f16 v[9:16], v[97:104], v[73:80], v[9:16]
	v_wmma_f32_16x16x16_f16 v[1:8], v[97:104], v[81:88], v[1:8]
	ds_load_b128 v[65:68], v166 offset:4640
	ds_load_b128 v[69:72], v166 offset:6704
	ds_load_b128 v[77:80], v167 offset:20128
	ds_load_b128 v[73:76], v167 offset:19088
	ds_load_b128 v[81:84], v167 offset:18576
	ds_load_b128 v[85:88], v167 offset:19616
	ds_load_b128 v[89:92], v166 offset:4128
	ds_load_b128 v[93:96], v166 offset:6192
	s_waitcnt lgkmcnt(4)
	v_wmma_f32_16x16x16_f16 v[41:48], v[65:72], v[73:80], v[41:48]
	s_waitcnt lgkmcnt(2)
	v_wmma_f32_16x16x16_f16 v[25:32], v[65:72], v[81:88], v[25:32]
	ds_load_b128 v[69:72], v166 offset:7216
	ds_load_b128 v[65:68], v166 offset:5152
	ds_load_b128 v[97:100], v166 offset:5664
	ds_load_b128 v[101:104], v166 offset:7728
	s_waitcnt lgkmcnt(4)
	v_wmma_f32_16x16x16_f16 v[49:56], v[89:96], v[73:80], v[49:56]
	v_wmma_f32_16x16x16_f16 v[57:64], v[89:96], v[81:88], v[57:64]
	s_waitcnt lgkmcnt(2)
	v_wmma_f32_16x16x16_f16 v[17:24], v[65:72], v[73:80], v[17:24]
	v_wmma_f32_16x16x16_f16 v[33:40], v[65:72], v[81:88], v[33:40]
	s_waitcnt lgkmcnt(0)
	v_wmma_f32_16x16x16_f16 v[9:16], v[97:104], v[73:80], v[9:16]
	v_wmma_f32_16x16x16_f16 v[1:8], v[97:104], v[81:88], v[1:8]
	ds_load_b128 v[65:68], v166 offset:8768
	ds_load_b128 v[69:72], v166 offset:10832
	ds_load_b128 v[77:80], v167 offset:22208
	ds_load_b128 v[73:76], v167 offset:21168
	ds_load_b128 v[81:84], v167 offset:20656
	ds_load_b128 v[85:88], v167 offset:21696
	ds_load_b128 v[89:92], v166 offset:8256
	ds_load_b128 v[93:96], v166 offset:10320
	;; [unrolled: 25-line block ×3, first 2 shown]
	s_waitcnt lgkmcnt(2)
	v_wmma_f32_16x16x16_f16 v[49:56], v[81:88], v[73:80], v[49:56]
	v_wmma_f32_16x16x16_f16 v[57:64], v[81:88], v[65:72], v[57:64]
	s_waitcnt lgkmcnt(0)
	v_wmma_f32_16x16x16_f16 v[41:48], v[89:96], v[73:80], v[41:48]
	v_wmma_f32_16x16x16_f16 v[25:32], v[89:96], v[65:72], v[25:32]
	ds_load_b128 v[85:88], v166 offset:15472
	ds_load_b128 v[81:84], v166 offset:13408
	;; [unrolled: 1-line block ×4, first 2 shown]
	s_waitcnt lgkmcnt(0)
	s_barrier
	v_wmma_f32_16x16x16_f16 v[33:40], v[81:88], v[65:72], v[33:40]
	v_wmma_f32_16x16x16_f16 v[17:24], v[81:88], v[73:80], v[17:24]
	;; [unrolled: 1-line block ×3, first 2 shown]
	v_lshlrev_b32_e32 v65, 4, v164
	v_and_b32_e32 v66, 8, v161
	v_wmma_f32_16x16x16_f16 v[9:16], v[89:96], v[73:80], v[9:16]
	s_delay_alu instid0(VALU_DEP_2) | instskip(NEXT) | instid1(VALU_DEP_1)
	v_and_or_b32 v65, v65, 16, v66
	v_lshlrev_b32_e32 v65, 5, v65
	s_delay_alu instid0(VALU_DEP_1) | instskip(NEXT) | instid1(VALU_DEP_1)
	v_or3_b32 v65, v65, v165, v163
	v_lshlrev_b32_e32 v65, 2, v65
	ds_store_2addr_b32 v65, v57, v58 offset1:32
	ds_store_2addr_b32 v65, v59, v60 offset0:64 offset1:96
	ds_store_2addr_b32 v65, v61, v62 offset0:128 offset1:160
	ds_store_2addr_b32 v65, v63, v64 offset0:192 offset1:224
	v_lshrrev_b32_e32 v57, 7, v0
	v_bfe_u32 v0, v0, 2, 5
	v_and_b32_e32 v58, 24, v162
	s_waitcnt lgkmcnt(0)
	s_barrier
	v_lshlrev_b32_e32 v59, 10, v57
	v_add_nc_u32_e32 v57, s34, v57
	v_or_b32_e32 v70, s15, v58
	v_lshlrev_b32_e32 v60, 5, v0
	s_mov_b32 s15, s11
	s_delay_alu instid0(VALU_DEP_3) | instskip(NEXT) | instid1(VALU_DEP_3)
	v_lshl_or_b32 v73, v57, 7, v0
	v_cmp_gt_i32_e32 vcc_lo, s33, v70
	s_delay_alu instid0(VALU_DEP_3) | instskip(NEXT) | instid1(VALU_DEP_3)
	v_or3_b32 v59, v60, v59, v58
	v_mad_u64_u32 v[71:72], null, v73, s30, v[70:71]
	s_delay_alu instid0(VALU_DEP_2) | instskip(SKIP_2) | instid1(VALU_DEP_4)
	v_lshlrev_b32_e32 v0, 2, v59
	v_cmp_gt_i32_e64 s2, s19, v73
	v_cmp_gt_i32_e64 s3, s18, v73
	v_lshlrev_b32_e32 v57, 1, v71
	s_delay_alu instid0(VALU_DEP_3)
	s_and_b32 s0, vcc_lo, s2
	buffer_load_b128 v[57:60], v57, s[8:11], 0 offen
	s_waitcnt vmcnt(0)
	v_cndmask_b32_e64 v72, 0, v59, s0
	v_cndmask_b32_e64 v74, 0, v60, s0
	v_cndmask_b32_e64 v57, 0, v57, s0
	v_cndmask_b32_e64 v58, 0, v58, s0
	v_cmp_gt_i32_e64 s0, s31, v70
	v_cvt_f32_f16_e32 v59, v72
	s_delay_alu instid0(VALU_DEP_2) | instskip(NEXT) | instid1(VALU_DEP_1)
	s_and_b32 s1, s0, s3
	v_mul_f32_e32 v63, s17, v59
	v_cvt_f32_f16_e32 v59, v74
	s_delay_alu instid0(VALU_DEP_1)
	v_mul_f32_e32 v64, s17, v59
	ds_load_b128 v[59:62], v0 offset:16
	ds_load_b128 v[66:69], v0
	s_waitcnt lgkmcnt(1)
	v_fma_mixlo_f16 v63, s16, v59, v63
	v_lshrrev_b32_e32 v59, 16, v74
	v_fma_mixlo_f16 v64, s16, v61, v64
	s_delay_alu instid0(VALU_DEP_2) | instskip(NEXT) | instid1(VALU_DEP_1)
	v_cvt_f32_f16_e32 v59, v59
	v_mul_f32_e32 v59, s17, v59
	s_delay_alu instid0(VALU_DEP_1) | instskip(SKIP_1) | instid1(VALU_DEP_1)
	v_fma_mixhi_f16 v64, s16, v62, v59
	v_lshrrev_b32_e32 v59, 16, v72
	v_cvt_f32_f16_e32 v59, v59
	s_delay_alu instid0(VALU_DEP_1) | instskip(NEXT) | instid1(VALU_DEP_1)
	v_mul_f32_e32 v59, s17, v59
	v_fma_mixhi_f16 v63, s16, v60, v59
	v_cvt_f32_f16_e32 v59, v57
	v_lshrrev_b32_e32 v57, 16, v57
	s_delay_alu instid0(VALU_DEP_2) | instskip(NEXT) | instid1(VALU_DEP_2)
	v_mul_f32_e32 v59, s17, v59
	v_cvt_f32_f16_e32 v57, v57
	s_waitcnt lgkmcnt(0)
	s_delay_alu instid0(VALU_DEP_2) | instskip(SKIP_3) | instid1(VALU_DEP_3)
	v_fma_mixlo_f16 v61, s16, v66, v59
	v_cvt_f32_f16_e32 v59, v58
	v_lshrrev_b32_e32 v58, 16, v58
	v_mul_f32_e32 v57, s17, v57
	v_mul_f32_e32 v59, s17, v59
	s_delay_alu instid0(VALU_DEP_3) | instskip(NEXT) | instid1(VALU_DEP_3)
	v_cvt_f32_f16_e32 v58, v58
	v_fma_mixhi_f16 v61, s16, v67, v57
	v_mad_u64_u32 v[66:67], null, v73, s29, v[70:71]
	s_delay_alu instid0(VALU_DEP_4) | instskip(NEXT) | instid1(VALU_DEP_4)
	v_fma_mixlo_f16 v62, s16, v68, v59
	v_mul_f32_e32 v58, s17, v58
	v_cndmask_b32_e64 v57, 0x80000000, 0, s1
	s_delay_alu instid0(VALU_DEP_2) | instskip(NEXT) | instid1(VALU_DEP_2)
	v_fma_mixhi_f16 v62, s16, v69, v58
	v_lshl_add_u32 v57, v66, 1, v57
	buffer_store_b128 v[61:64], v57, s[12:15], 0 offen
	v_add_nc_u32_e32 v64, 32, v71
	s_waitcnt lgkmcnt(0)
	s_waitcnt_vscnt null, 0x0
	s_barrier
	ds_store_2addr_b32 v65, v49, v50 offset1:32
	ds_store_2addr_b32 v65, v51, v52 offset0:64 offset1:96
	ds_store_2addr_b32 v65, v53, v54 offset0:128 offset1:160
	;; [unrolled: 1-line block ×3, first 2 shown]
	s_waitcnt lgkmcnt(0)
	v_lshlrev_b32_e32 v49, 1, v64
	s_barrier
	v_or_b32_e32 v63, 32, v70
	buffer_load_b128 v[49:52], v49, s[8:11], 0 offen
	v_cmp_gt_i32_e64 s1, s33, v63
	s_delay_alu instid0(VALU_DEP_1)
	s_and_b32 s2, s2, s1
	s_waitcnt vmcnt(0)
	v_cndmask_b32_e64 v59, 0, v51, s2
	v_cndmask_b32_e64 v67, 0, v52, s2
	;; [unrolled: 1-line block ×4, first 2 shown]
	v_cmp_gt_i32_e64 s2, s31, v63
	v_cvt_f32_f16_e32 v51, v59
	s_delay_alu instid0(VALU_DEP_2) | instskip(NEXT) | instid1(VALU_DEP_1)
	s_and_b32 s3, s3, s2
	v_mul_f32_e32 v60, s17, v51
	v_cvt_f32_f16_e32 v51, v67
	s_delay_alu instid0(VALU_DEP_1)
	v_mul_f32_e32 v62, s17, v51
	ds_load_b128 v[51:54], v0 offset:16
	ds_load_b128 v[55:58], v0
	s_waitcnt lgkmcnt(1)
	v_fma_mixlo_f16 v61, s16, v51, v60
	v_lshrrev_b32_e32 v51, 16, v67
	v_fma_mixlo_f16 v62, s16, v53, v62
	s_delay_alu instid0(VALU_DEP_2) | instskip(NEXT) | instid1(VALU_DEP_1)
	v_cvt_f32_f16_e32 v51, v51
	v_mul_f32_e32 v51, s17, v51
	s_delay_alu instid0(VALU_DEP_1) | instskip(SKIP_1) | instid1(VALU_DEP_1)
	v_fma_mixhi_f16 v62, s16, v54, v51
	v_lshrrev_b32_e32 v51, 16, v59
	v_cvt_f32_f16_e32 v51, v51
	s_delay_alu instid0(VALU_DEP_1) | instskip(NEXT) | instid1(VALU_DEP_1)
	v_mul_f32_e32 v51, s17, v51
	v_fma_mixhi_f16 v61, s16, v52, v51
	v_cvt_f32_f16_e32 v51, v49
	v_lshrrev_b32_e32 v49, 16, v49
	s_delay_alu instid0(VALU_DEP_2) | instskip(NEXT) | instid1(VALU_DEP_2)
	v_mul_f32_e32 v51, s17, v51
	v_cvt_f32_f16_e32 v49, v49
	s_waitcnt lgkmcnt(0)
	s_delay_alu instid0(VALU_DEP_2) | instskip(SKIP_4) | instid1(VALU_DEP_4)
	v_fma_mixlo_f16 v59, s16, v55, v51
	v_cvt_f32_f16_e32 v51, v50
	v_lshrrev_b32_e32 v50, 16, v50
	v_mul_f32_e32 v49, s17, v49
	v_add_nc_u32_e32 v55, 32, v66
	v_mul_f32_e32 v51, s17, v51
	s_delay_alu instid0(VALU_DEP_4) | instskip(NEXT) | instid1(VALU_DEP_4)
	v_cvt_f32_f16_e32 v50, v50
	v_fma_mixhi_f16 v59, s16, v56, v49
	v_cndmask_b32_e64 v49, 0x80000000, 0, s3
	v_or_b32_e32 v56, 32, v73
	v_fma_mixlo_f16 v60, s16, v57, v51
	v_mul_f32_e32 v50, s17, v50
	s_delay_alu instid0(VALU_DEP_4) | instskip(NEXT) | instid1(VALU_DEP_4)
	v_lshl_add_u32 v49, v55, 1, v49
	v_cmp_gt_i32_e64 s3, s19, v56
	s_delay_alu instid0(VALU_DEP_3) | instskip(NEXT) | instid1(VALU_DEP_2)
	v_fma_mixhi_f16 v60, s16, v58, v50
	s_and_b32 s4, s1, s3
	s_and_b32 s3, vcc_lo, s3
	buffer_store_b128 v[59:62], v49, s[12:15], 0 offen
	s_waitcnt lgkmcnt(0)
	s_waitcnt_vscnt null, 0x0
	s_barrier
	ds_store_2addr_b32 v65, v41, v42 offset1:32
	ds_store_2addr_b32 v65, v43, v44 offset0:64 offset1:96
	ds_store_2addr_b32 v65, v45, v46 offset0:128 offset1:160
	;; [unrolled: 1-line block ×3, first 2 shown]
	v_add_lshl_u32 v41, v64, s6, 1
	s_waitcnt lgkmcnt(0)
	s_barrier
	buffer_load_b128 v[41:44], v41, s[8:11], 0 offen
	s_waitcnt vmcnt(0)
	v_cndmask_b32_e64 v51, 0, v43, s4
	v_cndmask_b32_e64 v57, 0, v44, s4
	;; [unrolled: 1-line block ×4, first 2 shown]
	v_cmp_gt_i32_e64 s4, s18, v56
	v_cvt_f32_f16_e32 v43, v51
	s_delay_alu instid0(VALU_DEP_2) | instskip(NEXT) | instid1(VALU_DEP_1)
	s_and_b32 s7, s2, s4
	v_mul_f32_e32 v52, s17, v43
	v_cvt_f32_f16_e32 v43, v57
	s_delay_alu instid0(VALU_DEP_1)
	v_mul_f32_e32 v54, s17, v43
	ds_load_b128 v[43:46], v0 offset:16
	ds_load_b128 v[47:50], v0
	s_waitcnt lgkmcnt(1)
	v_fma_mixlo_f16 v53, s16, v43, v52
	v_lshrrev_b32_e32 v43, 16, v57
	v_fma_mixlo_f16 v54, s16, v45, v54
	v_add_nc_u32_e32 v45, s6, v71
	s_delay_alu instid0(VALU_DEP_3) | instskip(NEXT) | instid1(VALU_DEP_1)
	v_cvt_f32_f16_e32 v43, v43
	v_mul_f32_e32 v43, s17, v43
	s_delay_alu instid0(VALU_DEP_1) | instskip(SKIP_1) | instid1(VALU_DEP_1)
	v_fma_mixhi_f16 v54, s16, v46, v43
	v_lshrrev_b32_e32 v43, 16, v51
	v_cvt_f32_f16_e32 v43, v43
	s_delay_alu instid0(VALU_DEP_1) | instskip(NEXT) | instid1(VALU_DEP_1)
	v_mul_f32_e32 v43, s17, v43
	v_fma_mixhi_f16 v53, s16, v44, v43
	v_cvt_f32_f16_e32 v43, v41
	v_lshrrev_b32_e32 v41, 16, v41
	s_delay_alu instid0(VALU_DEP_2) | instskip(NEXT) | instid1(VALU_DEP_2)
	v_mul_f32_e32 v43, s17, v43
	v_cvt_f32_f16_e32 v41, v41
	s_waitcnt lgkmcnt(0)
	s_delay_alu instid0(VALU_DEP_2) | instskip(SKIP_3) | instid1(VALU_DEP_3)
	v_fma_mixlo_f16 v51, s16, v47, v43
	v_cvt_f32_f16_e32 v43, v42
	v_lshrrev_b32_e32 v42, 16, v42
	v_mul_f32_e32 v41, s17, v41
	v_mul_f32_e32 v43, s17, v43
	s_delay_alu instid0(VALU_DEP_3) | instskip(NEXT) | instid1(VALU_DEP_3)
	v_cvt_f32_f16_e32 v42, v42
	v_fma_mixhi_f16 v51, s16, v48, v41
	v_add_nc_u32_e32 v41, s5, v55
	s_delay_alu instid0(VALU_DEP_4) | instskip(NEXT) | instid1(VALU_DEP_4)
	v_fma_mixlo_f16 v52, s16, v49, v43
	v_mul_f32_e32 v42, s17, v42
	s_delay_alu instid0(VALU_DEP_1) | instskip(SKIP_1) | instid1(VALU_DEP_1)
	v_fma_mixhi_f16 v52, s16, v50, v42
	v_cndmask_b32_e64 v42, 0x80000000, 0, s7
	v_lshl_add_u32 v41, v41, 1, v42
	buffer_store_b128 v[51:54], v41, s[12:15], 0 offen
	s_waitcnt lgkmcnt(0)
	s_waitcnt_vscnt null, 0x0
	s_barrier
	ds_store_2addr_b32 v65, v25, v26 offset1:32
	ds_store_2addr_b32 v65, v27, v28 offset0:64 offset1:96
	ds_store_2addr_b32 v65, v29, v30 offset0:128 offset1:160
	;; [unrolled: 1-line block ×3, first 2 shown]
	v_lshlrev_b32_e32 v25, 1, v45
	s_waitcnt lgkmcnt(0)
	s_barrier
	buffer_load_b128 v[25:28], v25, s[8:11], 0 offen
	s_waitcnt vmcnt(0)
	v_cndmask_b32_e64 v46, 0, v27, s3
	v_cndmask_b32_e64 v47, 0, v28, s3
	;; [unrolled: 1-line block ×4, first 2 shown]
	s_and_b32 s3, s0, s4
	v_cvt_f32_f16_e32 v27, v46
	s_delay_alu instid0(VALU_DEP_1) | instskip(SKIP_1) | instid1(VALU_DEP_1)
	v_mul_f32_e32 v31, s17, v27
	v_cvt_f32_f16_e32 v27, v47
	v_mul_f32_e32 v32, s17, v27
	ds_load_b128 v[27:30], v0 offset:16
	ds_load_b128 v[41:44], v0
	s_waitcnt lgkmcnt(1)
	v_fma_mixlo_f16 v31, s16, v27, v31
	v_lshrrev_b32_e32 v27, 16, v47
	v_fma_mixlo_f16 v32, s16, v29, v32
	s_delay_alu instid0(VALU_DEP_2) | instskip(NEXT) | instid1(VALU_DEP_1)
	v_cvt_f32_f16_e32 v27, v27
	v_mul_f32_e32 v27, s17, v27
	s_delay_alu instid0(VALU_DEP_1) | instskip(SKIP_1) | instid1(VALU_DEP_1)
	v_fma_mixhi_f16 v32, s16, v30, v27
	v_lshrrev_b32_e32 v27, 16, v46
	v_cvt_f32_f16_e32 v27, v27
	s_delay_alu instid0(VALU_DEP_1) | instskip(NEXT) | instid1(VALU_DEP_1)
	v_mul_f32_e32 v27, s17, v27
	v_fma_mixhi_f16 v31, s16, v28, v27
	v_cvt_f32_f16_e32 v27, v25
	v_lshrrev_b32_e32 v25, 16, v25
	s_delay_alu instid0(VALU_DEP_2) | instskip(NEXT) | instid1(VALU_DEP_2)
	v_mul_f32_e32 v27, s17, v27
	v_cvt_f32_f16_e32 v25, v25
	s_waitcnt lgkmcnt(0)
	s_delay_alu instid0(VALU_DEP_2) | instskip(SKIP_4) | instid1(VALU_DEP_4)
	v_fma_mixlo_f16 v29, s16, v41, v27
	v_cvt_f32_f16_e32 v27, v26
	v_lshrrev_b32_e32 v26, 16, v26
	v_mul_f32_e32 v25, s17, v25
	v_add_nc_u32_e32 v41, s5, v66
	v_mul_f32_e32 v27, s17, v27
	s_delay_alu instid0(VALU_DEP_4) | instskip(NEXT) | instid1(VALU_DEP_4)
	v_cvt_f32_f16_e32 v26, v26
	v_fma_mixhi_f16 v29, s16, v42, v25
	v_cndmask_b32_e64 v25, 0x80000000, 0, s3
	s_delay_alu instid0(VALU_DEP_4) | instskip(NEXT) | instid1(VALU_DEP_4)
	v_fma_mixlo_f16 v30, s16, v43, v27
	v_mul_f32_e32 v26, s17, v26
	s_delay_alu instid0(VALU_DEP_3) | instskip(NEXT) | instid1(VALU_DEP_2)
	v_lshl_add_u32 v25, v41, 1, v25
	v_fma_mixhi_f16 v30, s16, v44, v26
	buffer_store_b128 v[29:32], v25, s[12:15], 0 offen
	s_waitcnt lgkmcnt(0)
	s_waitcnt_vscnt null, 0x0
	s_barrier
	ds_store_2addr_b32 v65, v33, v34 offset1:32
	ds_store_2addr_b32 v65, v35, v36 offset0:64 offset1:96
	ds_store_2addr_b32 v65, v37, v38 offset0:128 offset1:160
	;; [unrolled: 1-line block ×3, first 2 shown]
	v_add_nc_u32_e32 v39, s6, v45
	s_waitcnt lgkmcnt(0)
	s_barrier
	v_or_b32_e32 v40, 64, v73
	s_delay_alu instid0(VALU_DEP_2) | instskip(NEXT) | instid1(VALU_DEP_2)
	v_lshlrev_b32_e32 v25, 1, v39
	v_cmp_gt_i32_e64 s3, s19, v40
	buffer_load_b128 v[25:28], v25, s[8:11], 0 offen
	s_and_b32 s4, vcc_lo, s3
	s_and_b32 s3, s1, s3
	s_waitcnt vmcnt(0)
	v_cndmask_b32_e64 v35, 0, v27, s4
	v_cndmask_b32_e64 v42, 0, v28, s4
	v_cndmask_b32_e64 v25, 0, v25, s4
	v_cndmask_b32_e64 v26, 0, v26, s4
	v_cmp_gt_i32_e64 s4, s18, v40
	v_cvt_f32_f16_e32 v27, v35
	s_delay_alu instid0(VALU_DEP_2) | instskip(NEXT) | instid1(VALU_DEP_1)
	s_and_b32 s7, s0, s4
	v_mul_f32_e32 v36, s17, v27
	v_cvt_f32_f16_e32 v27, v42
	s_delay_alu instid0(VALU_DEP_1)
	v_mul_f32_e32 v38, s17, v27
	ds_load_b128 v[27:30], v0 offset:16
	ds_load_b128 v[31:34], v0
	s_waitcnt lgkmcnt(1)
	v_fma_mixlo_f16 v37, s16, v27, v36
	v_lshrrev_b32_e32 v27, 16, v42
	v_fma_mixlo_f16 v38, s16, v29, v38
	s_delay_alu instid0(VALU_DEP_2) | instskip(NEXT) | instid1(VALU_DEP_1)
	v_cvt_f32_f16_e32 v27, v27
	v_mul_f32_e32 v27, s17, v27
	s_delay_alu instid0(VALU_DEP_1) | instskip(SKIP_1) | instid1(VALU_DEP_1)
	v_fma_mixhi_f16 v38, s16, v30, v27
	v_lshrrev_b32_e32 v27, 16, v35
	v_cvt_f32_f16_e32 v27, v27
	s_delay_alu instid0(VALU_DEP_1) | instskip(NEXT) | instid1(VALU_DEP_1)
	v_mul_f32_e32 v27, s17, v27
	v_fma_mixhi_f16 v37, s16, v28, v27
	v_cvt_f32_f16_e32 v27, v25
	v_lshrrev_b32_e32 v25, 16, v25
	s_delay_alu instid0(VALU_DEP_2) | instskip(NEXT) | instid1(VALU_DEP_2)
	v_mul_f32_e32 v27, s17, v27
	v_cvt_f32_f16_e32 v25, v25
	s_waitcnt lgkmcnt(0)
	s_delay_alu instid0(VALU_DEP_2) | instskip(SKIP_4) | instid1(VALU_DEP_4)
	v_fma_mixlo_f16 v35, s16, v31, v27
	v_cvt_f32_f16_e32 v27, v26
	v_lshrrev_b32_e32 v26, 16, v26
	v_mul_f32_e32 v25, s17, v25
	v_add_nc_u32_e32 v31, s5, v41
	v_mul_f32_e32 v27, s17, v27
	s_delay_alu instid0(VALU_DEP_4) | instskip(NEXT) | instid1(VALU_DEP_4)
	v_cvt_f32_f16_e32 v26, v26
	v_fma_mixhi_f16 v35, s16, v32, v25
	v_cndmask_b32_e64 v25, 0x80000000, 0, s7
	v_add_nc_u32_e32 v32, 32, v39
	v_fma_mixlo_f16 v36, s16, v33, v27
	v_mul_f32_e32 v26, s17, v26
	s_delay_alu instid0(VALU_DEP_4) | instskip(NEXT) | instid1(VALU_DEP_2)
	v_lshl_add_u32 v25, v31, 1, v25
	v_fma_mixhi_f16 v36, s16, v34, v26
	buffer_store_b128 v[35:38], v25, s[12:15], 0 offen
	s_waitcnt lgkmcnt(0)
	s_waitcnt_vscnt null, 0x0
	s_barrier
	ds_store_2addr_b32 v65, v17, v18 offset1:32
	ds_store_2addr_b32 v65, v19, v20 offset0:64 offset1:96
	ds_store_2addr_b32 v65, v21, v22 offset0:128 offset1:160
	;; [unrolled: 1-line block ×3, first 2 shown]
	v_lshlrev_b32_e32 v17, 1, v32
	s_waitcnt lgkmcnt(0)
	s_barrier
	buffer_load_b128 v[17:20], v17, s[8:11], 0 offen
	s_waitcnt vmcnt(0)
	v_cndmask_b32_e64 v27, 0, v19, s3
	v_cndmask_b32_e64 v33, 0, v20, s3
	;; [unrolled: 1-line block ×4, first 2 shown]
	s_and_b32 s3, s2, s4
	v_cvt_f32_f16_e32 v19, v27
	s_delay_alu instid0(VALU_DEP_1) | instskip(SKIP_1) | instid1(VALU_DEP_1)
	v_mul_f32_e32 v28, s17, v19
	v_cvt_f32_f16_e32 v19, v33
	v_mul_f32_e32 v30, s17, v19
	ds_load_b128 v[19:22], v0 offset:16
	ds_load_b128 v[23:26], v0
	s_waitcnt lgkmcnt(1)
	v_fma_mixlo_f16 v29, s16, v19, v28
	v_lshrrev_b32_e32 v19, 16, v33
	v_fma_mixlo_f16 v30, s16, v21, v30
	s_delay_alu instid0(VALU_DEP_2) | instskip(NEXT) | instid1(VALU_DEP_1)
	v_cvt_f32_f16_e32 v19, v19
	v_mul_f32_e32 v19, s17, v19
	s_delay_alu instid0(VALU_DEP_1) | instskip(SKIP_1) | instid1(VALU_DEP_1)
	v_fma_mixhi_f16 v30, s16, v22, v19
	v_lshrrev_b32_e32 v19, 16, v27
	v_cvt_f32_f16_e32 v19, v19
	s_delay_alu instid0(VALU_DEP_1) | instskip(NEXT) | instid1(VALU_DEP_1)
	v_mul_f32_e32 v19, s17, v19
	v_fma_mixhi_f16 v29, s16, v20, v19
	v_cvt_f32_f16_e32 v19, v17
	v_lshrrev_b32_e32 v17, 16, v17
	s_delay_alu instid0(VALU_DEP_2) | instskip(NEXT) | instid1(VALU_DEP_2)
	v_mul_f32_e32 v19, s17, v19
	v_cvt_f32_f16_e32 v17, v17
	s_waitcnt lgkmcnt(0)
	s_delay_alu instid0(VALU_DEP_2) | instskip(SKIP_4) | instid1(VALU_DEP_4)
	v_fma_mixlo_f16 v27, s16, v23, v19
	v_cvt_f32_f16_e32 v19, v18
	v_lshrrev_b32_e32 v18, 16, v18
	v_add_nc_u32_e32 v23, 32, v31
	v_mul_f32_e32 v17, s17, v17
	v_mul_f32_e32 v19, s17, v19
	s_delay_alu instid0(VALU_DEP_4) | instskip(NEXT) | instid1(VALU_DEP_3)
	v_cvt_f32_f16_e32 v18, v18
	v_fma_mixhi_f16 v27, s16, v24, v17
	v_cndmask_b32_e64 v17, 0x80000000, 0, s3
	s_delay_alu instid0(VALU_DEP_4) | instskip(NEXT) | instid1(VALU_DEP_4)
	v_fma_mixlo_f16 v28, s16, v25, v19
	v_mul_f32_e32 v18, s17, v18
	v_or_b32_e32 v24, 0x60, v73
	s_delay_alu instid0(VALU_DEP_4) | instskip(NEXT) | instid1(VALU_DEP_3)
	v_lshl_add_u32 v17, v23, 1, v17
	v_fma_mixhi_f16 v28, s16, v26, v18
	s_delay_alu instid0(VALU_DEP_3)
	v_cmp_gt_i32_e64 s3, s19, v24
	buffer_store_b128 v[27:30], v17, s[12:15], 0 offen
	s_waitcnt lgkmcnt(0)
	s_waitcnt_vscnt null, 0x0
	s_barrier
	ds_store_2addr_b32 v65, v9, v10 offset1:32
	ds_store_2addr_b32 v65, v11, v12 offset0:64 offset1:96
	ds_store_2addr_b32 v65, v13, v14 offset0:128 offset1:160
	;; [unrolled: 1-line block ×3, first 2 shown]
	v_add_lshl_u32 v9, v32, s6, 1
	s_waitcnt lgkmcnt(0)
	s_barrier
	s_and_b32 s1, s1, s3
	s_and_b32 vcc_lo, vcc_lo, s3
	buffer_load_b128 v[9:12], v9, s[8:11], 0 offen
	s_waitcnt vmcnt(0)
	v_cndmask_b32_e64 v19, 0, v11, s1
	v_cndmask_b32_e64 v25, 0, v12, s1
	v_cndmask_b32_e64 v9, 0, v9, s1
	v_cndmask_b32_e64 v10, 0, v10, s1
	v_cmp_gt_i32_e64 s1, s18, v24
	v_cvt_f32_f16_e32 v11, v19
	s_delay_alu instid0(VALU_DEP_2) | instskip(NEXT) | instid1(VALU_DEP_1)
	s_and_b32 s2, s2, s1
	v_mul_f32_e32 v20, s17, v11
	v_cvt_f32_f16_e32 v11, v25
	s_and_b32 s0, s0, s1
	s_delay_alu instid0(VALU_DEP_1)
	v_mul_f32_e32 v22, s17, v11
	ds_load_b128 v[11:14], v0 offset:16
	ds_load_b128 v[15:18], v0
	s_waitcnt lgkmcnt(1)
	v_fma_mixlo_f16 v21, s16, v11, v20
	v_lshrrev_b32_e32 v11, 16, v25
	v_fma_mixlo_f16 v22, s16, v13, v22
	v_cndmask_b32_e64 v13, 0x80000000, 0, s0
	s_delay_alu instid0(VALU_DEP_3) | instskip(NEXT) | instid1(VALU_DEP_1)
	v_cvt_f32_f16_e32 v11, v11
	v_mul_f32_e32 v11, s17, v11
	s_delay_alu instid0(VALU_DEP_1) | instskip(SKIP_1) | instid1(VALU_DEP_1)
	v_fma_mixhi_f16 v22, s16, v14, v11
	v_lshrrev_b32_e32 v11, 16, v19
	v_cvt_f32_f16_e32 v11, v11
	s_delay_alu instid0(VALU_DEP_1) | instskip(NEXT) | instid1(VALU_DEP_1)
	v_mul_f32_e32 v11, s17, v11
	v_fma_mixhi_f16 v21, s16, v12, v11
	v_cvt_f32_f16_e32 v11, v9
	v_lshrrev_b32_e32 v9, 16, v9
	s_delay_alu instid0(VALU_DEP_2) | instskip(NEXT) | instid1(VALU_DEP_2)
	v_mul_f32_e32 v11, s17, v11
	v_cvt_f32_f16_e32 v9, v9
	s_waitcnt lgkmcnt(0)
	s_delay_alu instid0(VALU_DEP_2) | instskip(SKIP_3) | instid1(VALU_DEP_3)
	v_fma_mixlo_f16 v19, s16, v15, v11
	v_cvt_f32_f16_e32 v11, v10
	v_lshrrev_b32_e32 v10, 16, v10
	v_mul_f32_e32 v9, s17, v9
	v_mul_f32_e32 v11, s17, v11
	s_delay_alu instid0(VALU_DEP_3) | instskip(NEXT) | instid1(VALU_DEP_3)
	v_cvt_f32_f16_e32 v10, v10
	v_fma_mixhi_f16 v19, s16, v16, v9
	v_cndmask_b32_e64 v9, 0x80000000, 0, s2
	s_delay_alu instid0(VALU_DEP_4) | instskip(NEXT) | instid1(VALU_DEP_4)
	v_fma_mixlo_f16 v20, s16, v17, v11
	v_mul_f32_e32 v10, s17, v10
	s_delay_alu instid0(VALU_DEP_1) | instskip(SKIP_1) | instid1(VALU_DEP_1)
	v_fma_mixhi_f16 v20, s16, v18, v10
	v_add_nc_u32_e32 v10, s5, v23
	v_lshl_add_u32 v9, v10, 1, v9
	v_add_lshl_u32 v10, v39, s6, 1
	buffer_store_b128 v[19:22], v9, s[12:15], 0 offen
	s_waitcnt lgkmcnt(0)
	s_waitcnt_vscnt null, 0x0
	s_barrier
	ds_store_2addr_b32 v65, v1, v2 offset1:32
	ds_store_2addr_b32 v65, v3, v4 offset0:64 offset1:96
	ds_store_2addr_b32 v65, v5, v6 offset0:128 offset1:160
	;; [unrolled: 1-line block ×3, first 2 shown]
	s_waitcnt lgkmcnt(0)
	s_barrier
	buffer_load_b128 v[1:4], v10, s[8:11], 0 offen
	ds_load_b128 v[5:8], v0 offset:16
	ds_load_b128 v[9:12], v0
	s_waitcnt vmcnt(0)
	v_dual_cndmask_b32 v3, 0, v3 :: v_dual_cndmask_b32 v4, 0, v4
	v_dual_cndmask_b32 v0, 0, v1 :: v_dual_cndmask_b32 v1, 0, v2
	s_delay_alu instid0(VALU_DEP_2) | instskip(NEXT) | instid1(VALU_DEP_3)
	v_cvt_f32_f16_e32 v14, v3
	v_cvt_f32_f16_e32 v15, v4
	v_lshrrev_b32_e32 v4, 16, v4
	s_delay_alu instid0(VALU_DEP_4)
	v_cvt_f32_f16_e32 v16, v0
	v_lshrrev_b32_e32 v0, 16, v0
	v_mul_f32_e32 v2, s17, v14
	v_mul_f32_e32 v14, s17, v15
	v_lshrrev_b32_e32 v15, 16, v3
	v_cvt_f32_f16_e32 v4, v4
	s_waitcnt lgkmcnt(1)
	v_fma_mixlo_f16 v2, s16, v5, v2
	v_cvt_f32_f16_e32 v5, v1
	v_lshrrev_b32_e32 v1, 16, v1
	v_fma_mixlo_f16 v3, s16, v7, v14
	v_cvt_f32_f16_e32 v7, v15
	s_delay_alu instid0(VALU_DEP_4) | instskip(NEXT) | instid1(VALU_DEP_4)
	v_dual_mul_f32 v14, s17, v16 :: v_dual_mul_f32 v5, s17, v5
	v_cvt_f32_f16_e32 v15, v1
	v_cvt_f32_f16_e32 v16, v0
	s_delay_alu instid0(VALU_DEP_4)
	v_dual_mul_f32 v4, s17, v4 :: v_dual_mul_f32 v7, s17, v7
	s_waitcnt lgkmcnt(0)
	v_fma_mixlo_f16 v0, s16, v9, v14
	v_fma_mixlo_f16 v1, s16, v11, v5
	v_mul_f32_e32 v5, s17, v15
	v_mul_f32_e32 v9, s17, v16
	v_add_nc_u32_e32 v11, s5, v31
	v_fma_mixhi_f16 v3, s16, v8, v4
	v_fma_mixhi_f16 v2, s16, v6, v7
	;; [unrolled: 1-line block ×4, first 2 shown]
	v_lshl_add_u32 v4, v11, 1, v13
	buffer_store_b128 v[0:3], v4, s[12:15], 0 offen
	s_nop 0
	s_sendmsg sendmsg(MSG_DEALLOC_VGPRS)
	s_endpgm
	.section	.rodata,"a",@progbits
	.p2align	6, 0x0
	.amdhsa_kernel _ZN2ck36kernel_gemm_mupltipe_d_wmma_cshuffleINS_26GridwiseGemmMultipleD_WmmaIDF16_DF16_ffNS_5TupleIJDF16_EEEDF16_NS_16TensorDescriptorINS2_IJNS_5EmbedINS2_IJiiEEENS2_IJiNS_17integral_constantIiLi1EEEEEELb0EEENS_8RightPadIiiLb0EEESC_NS_7UnMergeINS2_IJiNS7_IiLi8EEEEEELb0EEENS_11PassThroughIiEEEEENS2_IJNS_8SequenceIJLi0EEEENSK_IJLi1EEEENSK_IJLi2EEEENSK_IJLi4EEEENSK_IJLi3EEEEEEENS2_IJNSK_IJLi1ELi2EEEESP_SO_NSK_IJLi5ELi6EEEENSK_IJLi7EEEEEEENSK_IJLi5ELi7ELi6EEEElEESW_NS2_IJNS4_INS2_IJSA_SC_SC_EEENS2_IJSL_SM_SN_EEENS2_IJSR_SP_SO_EEENSK_IJLi3ELi4EEEElEEEEES11_NS_16tensor_operation12element_wise11PassThroughES15_12AlphaBetaAddLNS_25InMemoryDataOperationEnumE0ELi128ELi64ELi64ELi16ELi16ELi8ELi4ELi2ELi128ENSK_IJLi4ELi32ELi1EEEENSK_IJLi1ELi0ELi2EEEES19_Li2ELi8ELi8ELb0ELb1ELb1ES18_S19_S19_Li2ELi8ELi8ELb0ELb1ELb1ELi1ELi1ENSK_IJLi1ELi32ELi1ELi4EEEELi8ELi2ELNS_13LoopSchedulerE0ELNS_15PipelineVersionE0EEEDF16_DF16_NS2_IJPKDF16_EEEDF16_SW_SW_NS2_IJNS4_INS2_IJSA_SC_SC_NSD_INS2_IJiNS7_IiLi128EEEEEELb0EEENSD_INS2_IJiNS7_IiLi64EEEEEELb0EEEEEENS2_IJSL_SM_SN_SP_SO_EEENS2_IJSR_SP_SO_SS_NSK_IJLi7ELi8EEEEEEENSK_IJLi5ELi6ELi7ELi8EEEElEEEEES1S_S15_S15_S16_NS_31BlockToCTileMap_M00_N0_M01AdaptILi128ELi64ES11_iEELb1EEEvPKT0_PKT1_T2_PT3_T4_T5_T6_T7_T8_T9_T10_T11_
		.amdhsa_group_segment_fixed_size 24800
		.amdhsa_private_segment_fixed_size 0
		.amdhsa_kernarg_size 360
		.amdhsa_user_sgpr_count 15
		.amdhsa_user_sgpr_dispatch_ptr 0
		.amdhsa_user_sgpr_queue_ptr 0
		.amdhsa_user_sgpr_kernarg_segment_ptr 1
		.amdhsa_user_sgpr_dispatch_id 0
		.amdhsa_user_sgpr_private_segment_size 0
		.amdhsa_wavefront_size32 1
		.amdhsa_uses_dynamic_stack 0
		.amdhsa_enable_private_segment 0
		.amdhsa_system_sgpr_workgroup_id_x 1
		.amdhsa_system_sgpr_workgroup_id_y 0
		.amdhsa_system_sgpr_workgroup_id_z 0
		.amdhsa_system_sgpr_workgroup_info 0
		.amdhsa_system_vgpr_workitem_id 0
		.amdhsa_next_free_vgpr 233
		.amdhsa_next_free_sgpr 85
		.amdhsa_reserve_vcc 1
		.amdhsa_float_round_mode_32 0
		.amdhsa_float_round_mode_16_64 0
		.amdhsa_float_denorm_mode_32 3
		.amdhsa_float_denorm_mode_16_64 3
		.amdhsa_dx10_clamp 1
		.amdhsa_ieee_mode 1
		.amdhsa_fp16_overflow 0
		.amdhsa_workgroup_processor_mode 1
		.amdhsa_memory_ordered 1
		.amdhsa_forward_progress 0
		.amdhsa_shared_vgpr_count 0
		.amdhsa_exception_fp_ieee_invalid_op 0
		.amdhsa_exception_fp_denorm_src 0
		.amdhsa_exception_fp_ieee_div_zero 0
		.amdhsa_exception_fp_ieee_overflow 0
		.amdhsa_exception_fp_ieee_underflow 0
		.amdhsa_exception_fp_ieee_inexact 0
		.amdhsa_exception_int_div_zero 0
	.end_amdhsa_kernel
	.section	.text._ZN2ck36kernel_gemm_mupltipe_d_wmma_cshuffleINS_26GridwiseGemmMultipleD_WmmaIDF16_DF16_ffNS_5TupleIJDF16_EEEDF16_NS_16TensorDescriptorINS2_IJNS_5EmbedINS2_IJiiEEENS2_IJiNS_17integral_constantIiLi1EEEEEELb0EEENS_8RightPadIiiLb0EEESC_NS_7UnMergeINS2_IJiNS7_IiLi8EEEEEELb0EEENS_11PassThroughIiEEEEENS2_IJNS_8SequenceIJLi0EEEENSK_IJLi1EEEENSK_IJLi2EEEENSK_IJLi4EEEENSK_IJLi3EEEEEEENS2_IJNSK_IJLi1ELi2EEEESP_SO_NSK_IJLi5ELi6EEEENSK_IJLi7EEEEEEENSK_IJLi5ELi7ELi6EEEElEESW_NS2_IJNS4_INS2_IJSA_SC_SC_EEENS2_IJSL_SM_SN_EEENS2_IJSR_SP_SO_EEENSK_IJLi3ELi4EEEElEEEEES11_NS_16tensor_operation12element_wise11PassThroughES15_12AlphaBetaAddLNS_25InMemoryDataOperationEnumE0ELi128ELi64ELi64ELi16ELi16ELi8ELi4ELi2ELi128ENSK_IJLi4ELi32ELi1EEEENSK_IJLi1ELi0ELi2EEEES19_Li2ELi8ELi8ELb0ELb1ELb1ES18_S19_S19_Li2ELi8ELi8ELb0ELb1ELb1ELi1ELi1ENSK_IJLi1ELi32ELi1ELi4EEEELi8ELi2ELNS_13LoopSchedulerE0ELNS_15PipelineVersionE0EEEDF16_DF16_NS2_IJPKDF16_EEEDF16_SW_SW_NS2_IJNS4_INS2_IJSA_SC_SC_NSD_INS2_IJiNS7_IiLi128EEEEEELb0EEENSD_INS2_IJiNS7_IiLi64EEEEEELb0EEEEEENS2_IJSL_SM_SN_SP_SO_EEENS2_IJSR_SP_SO_SS_NSK_IJLi7ELi8EEEEEEENSK_IJLi5ELi6ELi7ELi8EEEElEEEEES1S_S15_S15_S16_NS_31BlockToCTileMap_M00_N0_M01AdaptILi128ELi64ES11_iEELb1EEEvPKT0_PKT1_T2_PT3_T4_T5_T6_T7_T8_T9_T10_T11_,"axG",@progbits,_ZN2ck36kernel_gemm_mupltipe_d_wmma_cshuffleINS_26GridwiseGemmMultipleD_WmmaIDF16_DF16_ffNS_5TupleIJDF16_EEEDF16_NS_16TensorDescriptorINS2_IJNS_5EmbedINS2_IJiiEEENS2_IJiNS_17integral_constantIiLi1EEEEEELb0EEENS_8RightPadIiiLb0EEESC_NS_7UnMergeINS2_IJiNS7_IiLi8EEEEEELb0EEENS_11PassThroughIiEEEEENS2_IJNS_8SequenceIJLi0EEEENSK_IJLi1EEEENSK_IJLi2EEEENSK_IJLi4EEEENSK_IJLi3EEEEEEENS2_IJNSK_IJLi1ELi2EEEESP_SO_NSK_IJLi5ELi6EEEENSK_IJLi7EEEEEEENSK_IJLi5ELi7ELi6EEEElEESW_NS2_IJNS4_INS2_IJSA_SC_SC_EEENS2_IJSL_SM_SN_EEENS2_IJSR_SP_SO_EEENSK_IJLi3ELi4EEEElEEEEES11_NS_16tensor_operation12element_wise11PassThroughES15_12AlphaBetaAddLNS_25InMemoryDataOperationEnumE0ELi128ELi64ELi64ELi16ELi16ELi8ELi4ELi2ELi128ENSK_IJLi4ELi32ELi1EEEENSK_IJLi1ELi0ELi2EEEES19_Li2ELi8ELi8ELb0ELb1ELb1ES18_S19_S19_Li2ELi8ELi8ELb0ELb1ELb1ELi1ELi1ENSK_IJLi1ELi32ELi1ELi4EEEELi8ELi2ELNS_13LoopSchedulerE0ELNS_15PipelineVersionE0EEEDF16_DF16_NS2_IJPKDF16_EEEDF16_SW_SW_NS2_IJNS4_INS2_IJSA_SC_SC_NSD_INS2_IJiNS7_IiLi128EEEEEELb0EEENSD_INS2_IJiNS7_IiLi64EEEEEELb0EEEEEENS2_IJSL_SM_SN_SP_SO_EEENS2_IJSR_SP_SO_SS_NSK_IJLi7ELi8EEEEEEENSK_IJLi5ELi6ELi7ELi8EEEElEEEEES1S_S15_S15_S16_NS_31BlockToCTileMap_M00_N0_M01AdaptILi128ELi64ES11_iEELb1EEEvPKT0_PKT1_T2_PT3_T4_T5_T6_T7_T8_T9_T10_T11_,comdat
.Lfunc_end1:
	.size	_ZN2ck36kernel_gemm_mupltipe_d_wmma_cshuffleINS_26GridwiseGemmMultipleD_WmmaIDF16_DF16_ffNS_5TupleIJDF16_EEEDF16_NS_16TensorDescriptorINS2_IJNS_5EmbedINS2_IJiiEEENS2_IJiNS_17integral_constantIiLi1EEEEEELb0EEENS_8RightPadIiiLb0EEESC_NS_7UnMergeINS2_IJiNS7_IiLi8EEEEEELb0EEENS_11PassThroughIiEEEEENS2_IJNS_8SequenceIJLi0EEEENSK_IJLi1EEEENSK_IJLi2EEEENSK_IJLi4EEEENSK_IJLi3EEEEEEENS2_IJNSK_IJLi1ELi2EEEESP_SO_NSK_IJLi5ELi6EEEENSK_IJLi7EEEEEEENSK_IJLi5ELi7ELi6EEEElEESW_NS2_IJNS4_INS2_IJSA_SC_SC_EEENS2_IJSL_SM_SN_EEENS2_IJSR_SP_SO_EEENSK_IJLi3ELi4EEEElEEEEES11_NS_16tensor_operation12element_wise11PassThroughES15_12AlphaBetaAddLNS_25InMemoryDataOperationEnumE0ELi128ELi64ELi64ELi16ELi16ELi8ELi4ELi2ELi128ENSK_IJLi4ELi32ELi1EEEENSK_IJLi1ELi0ELi2EEEES19_Li2ELi8ELi8ELb0ELb1ELb1ES18_S19_S19_Li2ELi8ELi8ELb0ELb1ELb1ELi1ELi1ENSK_IJLi1ELi32ELi1ELi4EEEELi8ELi2ELNS_13LoopSchedulerE0ELNS_15PipelineVersionE0EEEDF16_DF16_NS2_IJPKDF16_EEEDF16_SW_SW_NS2_IJNS4_INS2_IJSA_SC_SC_NSD_INS2_IJiNS7_IiLi128EEEEEELb0EEENSD_INS2_IJiNS7_IiLi64EEEEEELb0EEEEEENS2_IJSL_SM_SN_SP_SO_EEENS2_IJSR_SP_SO_SS_NSK_IJLi7ELi8EEEEEEENSK_IJLi5ELi6ELi7ELi8EEEElEEEEES1S_S15_S15_S16_NS_31BlockToCTileMap_M00_N0_M01AdaptILi128ELi64ES11_iEELb1EEEvPKT0_PKT1_T2_PT3_T4_T5_T6_T7_T8_T9_T10_T11_, .Lfunc_end1-_ZN2ck36kernel_gemm_mupltipe_d_wmma_cshuffleINS_26GridwiseGemmMultipleD_WmmaIDF16_DF16_ffNS_5TupleIJDF16_EEEDF16_NS_16TensorDescriptorINS2_IJNS_5EmbedINS2_IJiiEEENS2_IJiNS_17integral_constantIiLi1EEEEEELb0EEENS_8RightPadIiiLb0EEESC_NS_7UnMergeINS2_IJiNS7_IiLi8EEEEEELb0EEENS_11PassThroughIiEEEEENS2_IJNS_8SequenceIJLi0EEEENSK_IJLi1EEEENSK_IJLi2EEEENSK_IJLi4EEEENSK_IJLi3EEEEEEENS2_IJNSK_IJLi1ELi2EEEESP_SO_NSK_IJLi5ELi6EEEENSK_IJLi7EEEEEEENSK_IJLi5ELi7ELi6EEEElEESW_NS2_IJNS4_INS2_IJSA_SC_SC_EEENS2_IJSL_SM_SN_EEENS2_IJSR_SP_SO_EEENSK_IJLi3ELi4EEEElEEEEES11_NS_16tensor_operation12element_wise11PassThroughES15_12AlphaBetaAddLNS_25InMemoryDataOperationEnumE0ELi128ELi64ELi64ELi16ELi16ELi8ELi4ELi2ELi128ENSK_IJLi4ELi32ELi1EEEENSK_IJLi1ELi0ELi2EEEES19_Li2ELi8ELi8ELb0ELb1ELb1ES18_S19_S19_Li2ELi8ELi8ELb0ELb1ELb1ELi1ELi1ENSK_IJLi1ELi32ELi1ELi4EEEELi8ELi2ELNS_13LoopSchedulerE0ELNS_15PipelineVersionE0EEEDF16_DF16_NS2_IJPKDF16_EEEDF16_SW_SW_NS2_IJNS4_INS2_IJSA_SC_SC_NSD_INS2_IJiNS7_IiLi128EEEEEELb0EEENSD_INS2_IJiNS7_IiLi64EEEEEELb0EEEEEENS2_IJSL_SM_SN_SP_SO_EEENS2_IJSR_SP_SO_SS_NSK_IJLi7ELi8EEEEEEENSK_IJLi5ELi6ELi7ELi8EEEElEEEEES1S_S15_S15_S16_NS_31BlockToCTileMap_M00_N0_M01AdaptILi128ELi64ES11_iEELb1EEEvPKT0_PKT1_T2_PT3_T4_T5_T6_T7_T8_T9_T10_T11_
                                        ; -- End function
	.section	.AMDGPU.csdata,"",@progbits
; Kernel info:
; codeLenInByte = 10676
; NumSgprs: 87
; NumVgprs: 233
; ScratchSize: 0
; MemoryBound: 0
; FloatMode: 240
; IeeeMode: 1
; LDSByteSize: 24800 bytes/workgroup (compile time only)
; SGPRBlocks: 10
; VGPRBlocks: 29
; NumSGPRsForWavesPerEU: 87
; NumVGPRsForWavesPerEU: 233
; Occupancy: 6
; WaveLimiterHint : 0
; COMPUTE_PGM_RSRC2:SCRATCH_EN: 0
; COMPUTE_PGM_RSRC2:USER_SGPR: 15
; COMPUTE_PGM_RSRC2:TRAP_HANDLER: 0
; COMPUTE_PGM_RSRC2:TGID_X_EN: 1
; COMPUTE_PGM_RSRC2:TGID_Y_EN: 0
; COMPUTE_PGM_RSRC2:TGID_Z_EN: 0
; COMPUTE_PGM_RSRC2:TIDIG_COMP_CNT: 0
	.section	.text._ZN2ck36kernel_gemm_mupltipe_d_wmma_cshuffleINS_26GridwiseGemmMultipleD_WmmaIDF16_DF16_ffNS_5TupleIJDF16_EEEDF16_NS_16TensorDescriptorINS2_IJNS_5EmbedINS2_IJiiEEENS2_IJiNS_17integral_constantIiLi1EEEEEELb0EEENS_8RightPadIiiLb0EEESC_NS_7UnMergeINS2_IJiNS7_IiLi8EEEEEELb0EEENS_11PassThroughIiEEEEENS2_IJNS_8SequenceIJLi0EEEENSK_IJLi1EEEENSK_IJLi2EEEENSK_IJLi4EEEENSK_IJLi3EEEEEEENS2_IJNSK_IJLi1ELi2EEEESP_SO_NSK_IJLi5ELi6EEEENSK_IJLi7EEEEEEENSK_IJLi5ELi7ELi6EEEElEESW_NS2_IJNS4_INS2_IJSA_SC_SC_EEENS2_IJSL_SM_SN_EEENS2_IJSR_SP_SO_EEENSK_IJLi3ELi4EEEElEEEEES11_NS_16tensor_operation12element_wise11PassThroughES15_12AlphaBetaAddLNS_25InMemoryDataOperationEnumE0ELi128ELi64ELi64ELi16ELi16ELi8ELi4ELi2ELi128ENSK_IJLi4ELi32ELi1EEEENSK_IJLi1ELi0ELi2EEEES19_Li2ELi8ELi8ELb0ELb1ELb1ES18_S19_S19_Li2ELi8ELi8ELb0ELb1ELb1ELi1ELi1ENSK_IJLi1ELi32ELi1ELi4EEEELi8ELi2ELNS_13LoopSchedulerE0ELNS_15PipelineVersionE0EEEDF16_DF16_NS2_IJPKDF16_EEEDF16_SW_SW_NS2_IJNS4_INS2_IJSA_SC_SC_NSD_INS2_IJiNS7_IiLi128EEEEEELb0EEENSD_INS2_IJiNS7_IiLi64EEEEEELb0EEEEEENS2_IJSL_SM_SN_SP_SO_EEENS2_IJSR_SP_SO_SS_NSK_IJLi7ELi8EEEEEEENSK_IJLi5ELi6ELi7ELi8EEEElEEEEES1S_S15_S15_S16_NS_31BlockToCTileMap_M00_N0_M01AdaptILi128ELi64ES11_iEELb0EEEvPKT0_PKT1_T2_PT3_T4_T5_T6_T7_T8_T9_T10_T11_,"axG",@progbits,_ZN2ck36kernel_gemm_mupltipe_d_wmma_cshuffleINS_26GridwiseGemmMultipleD_WmmaIDF16_DF16_ffNS_5TupleIJDF16_EEEDF16_NS_16TensorDescriptorINS2_IJNS_5EmbedINS2_IJiiEEENS2_IJiNS_17integral_constantIiLi1EEEEEELb0EEENS_8RightPadIiiLb0EEESC_NS_7UnMergeINS2_IJiNS7_IiLi8EEEEEELb0EEENS_11PassThroughIiEEEEENS2_IJNS_8SequenceIJLi0EEEENSK_IJLi1EEEENSK_IJLi2EEEENSK_IJLi4EEEENSK_IJLi3EEEEEEENS2_IJNSK_IJLi1ELi2EEEESP_SO_NSK_IJLi5ELi6EEEENSK_IJLi7EEEEEEENSK_IJLi5ELi7ELi6EEEElEESW_NS2_IJNS4_INS2_IJSA_SC_SC_EEENS2_IJSL_SM_SN_EEENS2_IJSR_SP_SO_EEENSK_IJLi3ELi4EEEElEEEEES11_NS_16tensor_operation12element_wise11PassThroughES15_12AlphaBetaAddLNS_25InMemoryDataOperationEnumE0ELi128ELi64ELi64ELi16ELi16ELi8ELi4ELi2ELi128ENSK_IJLi4ELi32ELi1EEEENSK_IJLi1ELi0ELi2EEEES19_Li2ELi8ELi8ELb0ELb1ELb1ES18_S19_S19_Li2ELi8ELi8ELb0ELb1ELb1ELi1ELi1ENSK_IJLi1ELi32ELi1ELi4EEEELi8ELi2ELNS_13LoopSchedulerE0ELNS_15PipelineVersionE0EEEDF16_DF16_NS2_IJPKDF16_EEEDF16_SW_SW_NS2_IJNS4_INS2_IJSA_SC_SC_NSD_INS2_IJiNS7_IiLi128EEEEEELb0EEENSD_INS2_IJiNS7_IiLi64EEEEEELb0EEEEEENS2_IJSL_SM_SN_SP_SO_EEENS2_IJSR_SP_SO_SS_NSK_IJLi7ELi8EEEEEEENSK_IJLi5ELi6ELi7ELi8EEEElEEEEES1S_S15_S15_S16_NS_31BlockToCTileMap_M00_N0_M01AdaptILi128ELi64ES11_iEELb0EEEvPKT0_PKT1_T2_PT3_T4_T5_T6_T7_T8_T9_T10_T11_,comdat
	.protected	_ZN2ck36kernel_gemm_mupltipe_d_wmma_cshuffleINS_26GridwiseGemmMultipleD_WmmaIDF16_DF16_ffNS_5TupleIJDF16_EEEDF16_NS_16TensorDescriptorINS2_IJNS_5EmbedINS2_IJiiEEENS2_IJiNS_17integral_constantIiLi1EEEEEELb0EEENS_8RightPadIiiLb0EEESC_NS_7UnMergeINS2_IJiNS7_IiLi8EEEEEELb0EEENS_11PassThroughIiEEEEENS2_IJNS_8SequenceIJLi0EEEENSK_IJLi1EEEENSK_IJLi2EEEENSK_IJLi4EEEENSK_IJLi3EEEEEEENS2_IJNSK_IJLi1ELi2EEEESP_SO_NSK_IJLi5ELi6EEEENSK_IJLi7EEEEEEENSK_IJLi5ELi7ELi6EEEElEESW_NS2_IJNS4_INS2_IJSA_SC_SC_EEENS2_IJSL_SM_SN_EEENS2_IJSR_SP_SO_EEENSK_IJLi3ELi4EEEElEEEEES11_NS_16tensor_operation12element_wise11PassThroughES15_12AlphaBetaAddLNS_25InMemoryDataOperationEnumE0ELi128ELi64ELi64ELi16ELi16ELi8ELi4ELi2ELi128ENSK_IJLi4ELi32ELi1EEEENSK_IJLi1ELi0ELi2EEEES19_Li2ELi8ELi8ELb0ELb1ELb1ES18_S19_S19_Li2ELi8ELi8ELb0ELb1ELb1ELi1ELi1ENSK_IJLi1ELi32ELi1ELi4EEEELi8ELi2ELNS_13LoopSchedulerE0ELNS_15PipelineVersionE0EEEDF16_DF16_NS2_IJPKDF16_EEEDF16_SW_SW_NS2_IJNS4_INS2_IJSA_SC_SC_NSD_INS2_IJiNS7_IiLi128EEEEEELb0EEENSD_INS2_IJiNS7_IiLi64EEEEEELb0EEEEEENS2_IJSL_SM_SN_SP_SO_EEENS2_IJSR_SP_SO_SS_NSK_IJLi7ELi8EEEEEEENSK_IJLi5ELi6ELi7ELi8EEEElEEEEES1S_S15_S15_S16_NS_31BlockToCTileMap_M00_N0_M01AdaptILi128ELi64ES11_iEELb0EEEvPKT0_PKT1_T2_PT3_T4_T5_T6_T7_T8_T9_T10_T11_ ; -- Begin function _ZN2ck36kernel_gemm_mupltipe_d_wmma_cshuffleINS_26GridwiseGemmMultipleD_WmmaIDF16_DF16_ffNS_5TupleIJDF16_EEEDF16_NS_16TensorDescriptorINS2_IJNS_5EmbedINS2_IJiiEEENS2_IJiNS_17integral_constantIiLi1EEEEEELb0EEENS_8RightPadIiiLb0EEESC_NS_7UnMergeINS2_IJiNS7_IiLi8EEEEEELb0EEENS_11PassThroughIiEEEEENS2_IJNS_8SequenceIJLi0EEEENSK_IJLi1EEEENSK_IJLi2EEEENSK_IJLi4EEEENSK_IJLi3EEEEEEENS2_IJNSK_IJLi1ELi2EEEESP_SO_NSK_IJLi5ELi6EEEENSK_IJLi7EEEEEEENSK_IJLi5ELi7ELi6EEEElEESW_NS2_IJNS4_INS2_IJSA_SC_SC_EEENS2_IJSL_SM_SN_EEENS2_IJSR_SP_SO_EEENSK_IJLi3ELi4EEEElEEEEES11_NS_16tensor_operation12element_wise11PassThroughES15_12AlphaBetaAddLNS_25InMemoryDataOperationEnumE0ELi128ELi64ELi64ELi16ELi16ELi8ELi4ELi2ELi128ENSK_IJLi4ELi32ELi1EEEENSK_IJLi1ELi0ELi2EEEES19_Li2ELi8ELi8ELb0ELb1ELb1ES18_S19_S19_Li2ELi8ELi8ELb0ELb1ELb1ELi1ELi1ENSK_IJLi1ELi32ELi1ELi4EEEELi8ELi2ELNS_13LoopSchedulerE0ELNS_15PipelineVersionE0EEEDF16_DF16_NS2_IJPKDF16_EEEDF16_SW_SW_NS2_IJNS4_INS2_IJSA_SC_SC_NSD_INS2_IJiNS7_IiLi128EEEEEELb0EEENSD_INS2_IJiNS7_IiLi64EEEEEELb0EEEEEENS2_IJSL_SM_SN_SP_SO_EEENS2_IJSR_SP_SO_SS_NSK_IJLi7ELi8EEEEEEENSK_IJLi5ELi6ELi7ELi8EEEElEEEEES1S_S15_S15_S16_NS_31BlockToCTileMap_M00_N0_M01AdaptILi128ELi64ES11_iEELb0EEEvPKT0_PKT1_T2_PT3_T4_T5_T6_T7_T8_T9_T10_T11_
	.globl	_ZN2ck36kernel_gemm_mupltipe_d_wmma_cshuffleINS_26GridwiseGemmMultipleD_WmmaIDF16_DF16_ffNS_5TupleIJDF16_EEEDF16_NS_16TensorDescriptorINS2_IJNS_5EmbedINS2_IJiiEEENS2_IJiNS_17integral_constantIiLi1EEEEEELb0EEENS_8RightPadIiiLb0EEESC_NS_7UnMergeINS2_IJiNS7_IiLi8EEEEEELb0EEENS_11PassThroughIiEEEEENS2_IJNS_8SequenceIJLi0EEEENSK_IJLi1EEEENSK_IJLi2EEEENSK_IJLi4EEEENSK_IJLi3EEEEEEENS2_IJNSK_IJLi1ELi2EEEESP_SO_NSK_IJLi5ELi6EEEENSK_IJLi7EEEEEEENSK_IJLi5ELi7ELi6EEEElEESW_NS2_IJNS4_INS2_IJSA_SC_SC_EEENS2_IJSL_SM_SN_EEENS2_IJSR_SP_SO_EEENSK_IJLi3ELi4EEEElEEEEES11_NS_16tensor_operation12element_wise11PassThroughES15_12AlphaBetaAddLNS_25InMemoryDataOperationEnumE0ELi128ELi64ELi64ELi16ELi16ELi8ELi4ELi2ELi128ENSK_IJLi4ELi32ELi1EEEENSK_IJLi1ELi0ELi2EEEES19_Li2ELi8ELi8ELb0ELb1ELb1ES18_S19_S19_Li2ELi8ELi8ELb0ELb1ELb1ELi1ELi1ENSK_IJLi1ELi32ELi1ELi4EEEELi8ELi2ELNS_13LoopSchedulerE0ELNS_15PipelineVersionE0EEEDF16_DF16_NS2_IJPKDF16_EEEDF16_SW_SW_NS2_IJNS4_INS2_IJSA_SC_SC_NSD_INS2_IJiNS7_IiLi128EEEEEELb0EEENSD_INS2_IJiNS7_IiLi64EEEEEELb0EEEEEENS2_IJSL_SM_SN_SP_SO_EEENS2_IJSR_SP_SO_SS_NSK_IJLi7ELi8EEEEEEENSK_IJLi5ELi6ELi7ELi8EEEElEEEEES1S_S15_S15_S16_NS_31BlockToCTileMap_M00_N0_M01AdaptILi128ELi64ES11_iEELb0EEEvPKT0_PKT1_T2_PT3_T4_T5_T6_T7_T8_T9_T10_T11_
	.p2align	8
	.type	_ZN2ck36kernel_gemm_mupltipe_d_wmma_cshuffleINS_26GridwiseGemmMultipleD_WmmaIDF16_DF16_ffNS_5TupleIJDF16_EEEDF16_NS_16TensorDescriptorINS2_IJNS_5EmbedINS2_IJiiEEENS2_IJiNS_17integral_constantIiLi1EEEEEELb0EEENS_8RightPadIiiLb0EEESC_NS_7UnMergeINS2_IJiNS7_IiLi8EEEEEELb0EEENS_11PassThroughIiEEEEENS2_IJNS_8SequenceIJLi0EEEENSK_IJLi1EEEENSK_IJLi2EEEENSK_IJLi4EEEENSK_IJLi3EEEEEEENS2_IJNSK_IJLi1ELi2EEEESP_SO_NSK_IJLi5ELi6EEEENSK_IJLi7EEEEEEENSK_IJLi5ELi7ELi6EEEElEESW_NS2_IJNS4_INS2_IJSA_SC_SC_EEENS2_IJSL_SM_SN_EEENS2_IJSR_SP_SO_EEENSK_IJLi3ELi4EEEElEEEEES11_NS_16tensor_operation12element_wise11PassThroughES15_12AlphaBetaAddLNS_25InMemoryDataOperationEnumE0ELi128ELi64ELi64ELi16ELi16ELi8ELi4ELi2ELi128ENSK_IJLi4ELi32ELi1EEEENSK_IJLi1ELi0ELi2EEEES19_Li2ELi8ELi8ELb0ELb1ELb1ES18_S19_S19_Li2ELi8ELi8ELb0ELb1ELb1ELi1ELi1ENSK_IJLi1ELi32ELi1ELi4EEEELi8ELi2ELNS_13LoopSchedulerE0ELNS_15PipelineVersionE0EEEDF16_DF16_NS2_IJPKDF16_EEEDF16_SW_SW_NS2_IJNS4_INS2_IJSA_SC_SC_NSD_INS2_IJiNS7_IiLi128EEEEEELb0EEENSD_INS2_IJiNS7_IiLi64EEEEEELb0EEEEEENS2_IJSL_SM_SN_SP_SO_EEENS2_IJSR_SP_SO_SS_NSK_IJLi7ELi8EEEEEEENSK_IJLi5ELi6ELi7ELi8EEEElEEEEES1S_S15_S15_S16_NS_31BlockToCTileMap_M00_N0_M01AdaptILi128ELi64ES11_iEELb0EEEvPKT0_PKT1_T2_PT3_T4_T5_T6_T7_T8_T9_T10_T11_,@function
_ZN2ck36kernel_gemm_mupltipe_d_wmma_cshuffleINS_26GridwiseGemmMultipleD_WmmaIDF16_DF16_ffNS_5TupleIJDF16_EEEDF16_NS_16TensorDescriptorINS2_IJNS_5EmbedINS2_IJiiEEENS2_IJiNS_17integral_constantIiLi1EEEEEELb0EEENS_8RightPadIiiLb0EEESC_NS_7UnMergeINS2_IJiNS7_IiLi8EEEEEELb0EEENS_11PassThroughIiEEEEENS2_IJNS_8SequenceIJLi0EEEENSK_IJLi1EEEENSK_IJLi2EEEENSK_IJLi4EEEENSK_IJLi3EEEEEEENS2_IJNSK_IJLi1ELi2EEEESP_SO_NSK_IJLi5ELi6EEEENSK_IJLi7EEEEEEENSK_IJLi5ELi7ELi6EEEElEESW_NS2_IJNS4_INS2_IJSA_SC_SC_EEENS2_IJSL_SM_SN_EEENS2_IJSR_SP_SO_EEENSK_IJLi3ELi4EEEElEEEEES11_NS_16tensor_operation12element_wise11PassThroughES15_12AlphaBetaAddLNS_25InMemoryDataOperationEnumE0ELi128ELi64ELi64ELi16ELi16ELi8ELi4ELi2ELi128ENSK_IJLi4ELi32ELi1EEEENSK_IJLi1ELi0ELi2EEEES19_Li2ELi8ELi8ELb0ELb1ELb1ES18_S19_S19_Li2ELi8ELi8ELb0ELb1ELb1ELi1ELi1ENSK_IJLi1ELi32ELi1ELi4EEEELi8ELi2ELNS_13LoopSchedulerE0ELNS_15PipelineVersionE0EEEDF16_DF16_NS2_IJPKDF16_EEEDF16_SW_SW_NS2_IJNS4_INS2_IJSA_SC_SC_NSD_INS2_IJiNS7_IiLi128EEEEEELb0EEENSD_INS2_IJiNS7_IiLi64EEEEEELb0EEEEEENS2_IJSL_SM_SN_SP_SO_EEENS2_IJSR_SP_SO_SS_NSK_IJLi7ELi8EEEEEEENSK_IJLi5ELi6ELi7ELi8EEEElEEEEES1S_S15_S15_S16_NS_31BlockToCTileMap_M00_N0_M01AdaptILi128ELi64ES11_iEELb0EEEvPKT0_PKT1_T2_PT3_T4_T5_T6_T7_T8_T9_T10_T11_: ; @_ZN2ck36kernel_gemm_mupltipe_d_wmma_cshuffleINS_26GridwiseGemmMultipleD_WmmaIDF16_DF16_ffNS_5TupleIJDF16_EEEDF16_NS_16TensorDescriptorINS2_IJNS_5EmbedINS2_IJiiEEENS2_IJiNS_17integral_constantIiLi1EEEEEELb0EEENS_8RightPadIiiLb0EEESC_NS_7UnMergeINS2_IJiNS7_IiLi8EEEEEELb0EEENS_11PassThroughIiEEEEENS2_IJNS_8SequenceIJLi0EEEENSK_IJLi1EEEENSK_IJLi2EEEENSK_IJLi4EEEENSK_IJLi3EEEEEEENS2_IJNSK_IJLi1ELi2EEEESP_SO_NSK_IJLi5ELi6EEEENSK_IJLi7EEEEEEENSK_IJLi5ELi7ELi6EEEElEESW_NS2_IJNS4_INS2_IJSA_SC_SC_EEENS2_IJSL_SM_SN_EEENS2_IJSR_SP_SO_EEENSK_IJLi3ELi4EEEElEEEEES11_NS_16tensor_operation12element_wise11PassThroughES15_12AlphaBetaAddLNS_25InMemoryDataOperationEnumE0ELi128ELi64ELi64ELi16ELi16ELi8ELi4ELi2ELi128ENSK_IJLi4ELi32ELi1EEEENSK_IJLi1ELi0ELi2EEEES19_Li2ELi8ELi8ELb0ELb1ELb1ES18_S19_S19_Li2ELi8ELi8ELb0ELb1ELb1ELi1ELi1ENSK_IJLi1ELi32ELi1ELi4EEEELi8ELi2ELNS_13LoopSchedulerE0ELNS_15PipelineVersionE0EEEDF16_DF16_NS2_IJPKDF16_EEEDF16_SW_SW_NS2_IJNS4_INS2_IJSA_SC_SC_NSD_INS2_IJiNS7_IiLi128EEEEEELb0EEENSD_INS2_IJiNS7_IiLi64EEEEEELb0EEEEEENS2_IJSL_SM_SN_SP_SO_EEENS2_IJSR_SP_SO_SS_NSK_IJLi7ELi8EEEEEEENSK_IJLi5ELi6ELi7ELi8EEEElEEEEES1S_S15_S15_S16_NS_31BlockToCTileMap_M00_N0_M01AdaptILi128ELi64ES11_iEELb0EEEvPKT0_PKT1_T2_PT3_T4_T5_T6_T7_T8_T9_T10_T11_
; %bb.0:
	s_clause 0x1
	s_load_b128 s[24:27], s[0:1], 0x154
	s_load_b32 s2, s[0:1], 0x164
	v_and_b32_e32 v55, 0xfc, v0
	s_abs_i32 s9, s15
	v_lshrrev_b32_e32 v177, 1, v0
	s_mov_b32 s31, 0x31004000
	v_and_b32_e32 v57, 15, v0
	v_lshlrev_b32_e32 v178, 3, v0
	v_lshlrev_b32_e32 v58, 2, v0
	v_and_b32_e32 v53, 0x7e, v177
	s_delay_alu instid0(VALU_DEP_4) | instskip(SKIP_1) | instid1(VALU_DEP_4)
	v_and_or_b32 v179, v177, 16, v57
	v_and_b32_e32 v177, 8, v177
	v_and_b32_e32 v57, 0x300, v58
	s_waitcnt lgkmcnt(0)
	s_add_i32 s3, s26, 0x7f
	s_add_i32 s4, s27, 63
	s_ashr_i32 s5, s3, 31
	s_ashr_i32 s6, s4, 31
	s_lshr_b32 s5, s5, 25
	s_lshr_b32 s6, s6, 26
	s_add_i32 s3, s3, s5
	s_add_i32 s4, s4, s6
	s_ashr_i32 s5, s3, 7
	s_ashr_i32 s6, s4, 6
	s_delay_alu instid0(SALU_CYCLE_1) | instskip(NEXT) | instid1(SALU_CYCLE_1)
	s_mul_i32 s4, s6, s5
	s_abs_i32 s4, s4
	s_delay_alu instid0(SALU_CYCLE_1) | instskip(SKIP_1) | instid1(VALU_DEP_1)
	v_cvt_f32_u32_e32 v1, s4
	s_sub_i32 s8, 0, s4
	v_rcp_iflag_f32_e32 v1, v1
	s_waitcnt_depctr 0xfff
	v_mul_f32_e32 v1, 0x4f7ffffe, v1
	s_delay_alu instid0(VALU_DEP_1) | instskip(NEXT) | instid1(VALU_DEP_1)
	v_cvt_u32_f32_e32 v1, v1
	v_readfirstlane_b32 s7, v1
	s_delay_alu instid0(VALU_DEP_1) | instskip(NEXT) | instid1(SALU_CYCLE_1)
	s_mul_i32 s8, s8, s7
	s_mul_hi_u32 s8, s7, s8
	s_delay_alu instid0(SALU_CYCLE_1) | instskip(SKIP_2) | instid1(SALU_CYCLE_1)
	s_add_i32 s7, s7, s8
	s_ashr_i32 s8, s15, 31
	s_mul_hi_u32 s7, s9, s7
	s_mul_i32 s7, s7, s4
	s_delay_alu instid0(SALU_CYCLE_1) | instskip(NEXT) | instid1(SALU_CYCLE_1)
	s_sub_i32 s7, s9, s7
	s_sub_i32 s9, s7, s4
	s_cmp_ge_u32 s7, s4
	s_cselect_b32 s7, s9, s7
	s_delay_alu instid0(SALU_CYCLE_1)
	s_sub_i32 s9, s7, s4
	s_cmp_ge_u32 s7, s4
	s_cselect_b32 s4, s9, s7
	s_abs_i32 s7, s6
	s_xor_b32 s4, s4, s8
	v_cvt_f32_u32_e32 v1, s7
	s_sub_i32 s10, 0, s7
	s_sub_i32 s8, s4, s8
	s_delay_alu instid0(VALU_DEP_1) | instskip(SKIP_2) | instid1(VALU_DEP_1)
	v_rcp_iflag_f32_e32 v1, v1
	s_waitcnt_depctr 0xfff
	v_mul_f32_e32 v1, 0x4f7ffffe, v1
	v_cvt_u32_f32_e32 v1, v1
	s_delay_alu instid0(VALU_DEP_1) | instskip(NEXT) | instid1(VALU_DEP_1)
	v_readfirstlane_b32 s9, v1
	s_mul_i32 s10, s10, s9
	s_delay_alu instid0(SALU_CYCLE_1) | instskip(SKIP_2) | instid1(SALU_CYCLE_1)
	s_mul_hi_u32 s4, s9, s10
	s_abs_i32 s10, s8
	s_add_i32 s9, s9, s4
	s_mul_hi_u32 s4, s10, s9
	s_xor_b32 s9, s8, s6
	s_mul_i32 s11, s4, s7
	s_ashr_i32 s9, s9, 31
	s_sub_i32 s10, s10, s11
	s_add_i32 s11, s4, 1
	s_sub_i32 s12, s10, s7
	s_cmp_ge_u32 s10, s7
	s_cselect_b32 s4, s11, s4
	s_cselect_b32 s10, s12, s10
	s_add_i32 s11, s4, 1
	s_cmp_ge_u32 s10, s7
	s_cselect_b32 s4, s11, s4
	s_abs_i32 s7, s2
	s_abs_i32 s12, s5
	v_cvt_f32_u32_e32 v1, s7
	s_sub_i32 s11, 0, s7
	s_ashr_i32 s13, s3, 31
	s_xor_b32 s3, s4, s9
	s_delay_alu instid0(VALU_DEP_1) | instskip(SKIP_3) | instid1(VALU_DEP_1)
	v_rcp_iflag_f32_e32 v1, v1
	s_sub_i32 s3, s3, s9
	s_waitcnt_depctr 0xfff
	v_mul_f32_e32 v1, 0x4f7ffffe, v1
	v_cvt_u32_f32_e32 v1, v1
	s_delay_alu instid0(VALU_DEP_1) | instskip(NEXT) | instid1(VALU_DEP_1)
	v_readfirstlane_b32 s10, v1
	s_mul_i32 s11, s11, s10
	s_delay_alu instid0(SALU_CYCLE_1) | instskip(NEXT) | instid1(SALU_CYCLE_1)
	s_mul_hi_u32 s11, s10, s11
	s_add_i32 s10, s10, s11
	s_delay_alu instid0(SALU_CYCLE_1) | instskip(NEXT) | instid1(SALU_CYCLE_1)
	s_mul_hi_u32 s11, s12, s10
	s_mul_i32 s11, s11, s7
	s_delay_alu instid0(SALU_CYCLE_1) | instskip(NEXT) | instid1(SALU_CYCLE_1)
	s_sub_i32 s4, s12, s11
	s_sub_i32 s9, s4, s7
	s_cmp_ge_u32 s4, s7
	s_cselect_b32 s4, s9, s4
	s_delay_alu instid0(SALU_CYCLE_1) | instskip(SKIP_4) | instid1(SALU_CYCLE_1)
	s_sub_i32 s9, s4, s7
	s_cmp_ge_u32 s4, s7
	s_cselect_b32 s4, s9, s4
	s_mul_i32 s9, s3, s6
	s_xor_b32 s4, s4, s13
	s_sub_i32 s4, s4, s13
	s_delay_alu instid0(SALU_CYCLE_1) | instskip(NEXT) | instid1(SALU_CYCLE_1)
	s_sub_i32 s5, s5, s4
	s_cmp_lt_i32 s3, s5
	s_cselect_b32 s4, s2, s4
	s_abs_i32 s2, s3
	s_sub_i32 s16, s8, s9
	s_mul_hi_u32 s5, s2, s10
	s_delay_alu instid0(SALU_CYCLE_1) | instskip(NEXT) | instid1(SALU_CYCLE_1)
	s_mul_i32 s5, s5, s7
	s_sub_i32 s2, s2, s5
	s_ashr_i32 s5, s3, 31
	s_sub_i32 s8, s2, s7
	s_cmp_ge_u32 s2, s7
	s_cselect_b32 s2, s8, s2
	s_delay_alu instid0(SALU_CYCLE_1)
	s_sub_i32 s8, s2, s7
	s_cmp_ge_u32 s2, s7
	s_cselect_b32 s2, s8, s2
	s_abs_i32 s7, s4
	s_xor_b32 s17, s2, s5
	v_cvt_f32_u32_e32 v1, s7
	s_sub_i32 s5, s17, s5
	s_sub_i32 s17, 0, s7
	s_mul_i32 s6, s5, s6
	s_clause 0x1
	s_load_b32 s2, s[0:1], 0x60
	s_load_b32 s20, s[0:1], 0x70
	v_rcp_iflag_f32_e32 v1, v1
	s_add_i32 s6, s6, s16
	s_clause 0x2
	s_load_b256 s[8:15], s[0:1], 0x0
	s_load_b32 s22, s[0:1], 0x7c
	s_load_b32 s33, s[0:1], 0x88
	s_waitcnt_depctr 0xfff
	v_mul_f32_e32 v1, 0x4f7ffffe, v1
	s_delay_alu instid0(VALU_DEP_1) | instskip(NEXT) | instid1(VALU_DEP_1)
	v_cvt_u32_f32_e32 v1, v1
	v_readfirstlane_b32 s18, v1
	v_lshlrev_b32_e32 v1, 1, v0
	s_waitcnt lgkmcnt(0)
	s_mov_b32 s28, s8
	s_mov_b32 s29, s9
	s_mul_i32 s17, s17, s18
	v_and_b32_e32 v52, 6, v1
	s_mul_hi_u32 s16, s18, s17
	s_abs_i32 s17, s6
	s_add_i32 s18, s18, s16
	s_delay_alu instid0(SALU_CYCLE_1)
	s_mul_hi_u32 s16, s17, s18
	s_xor_b32 s18, s6, s4
	s_mul_i32 s19, s16, s7
	s_ashr_i32 s18, s18, 31
	s_sub_i32 s17, s17, s19
	s_add_i32 s19, s16, 1
	s_sub_i32 s21, s17, s7
	s_cmp_ge_u32 s17, s7
	v_lshlrev_b32_e32 v169, 3, v52
	s_cselect_b32 s16, s19, s16
	s_cselect_b32 s17, s21, s17
	s_add_i32 s19, s16, 1
	s_cmp_ge_u32 s17, s7
	s_load_b32 s21, s[0:1], 0x28
	s_cselect_b32 s7, s19, s16
	s_sub_i32 s27, s3, s5
	s_xor_b32 s7, s7, s18
	s_mov_b32 s19, s31
	s_sub_i32 s7, s7, s18
	s_load_b32 s18, s[0:1], 0xa8
	s_lshl_b32 s26, s7, 6
	s_mul_i32 s7, s7, s4
	v_add_nc_u32_e32 v54, s26, v53
	s_sub_i32 s3, s6, s7
	s_mov_b32 s16, s10
	s_add_i32 s27, s27, s3
	s_mov_b32 s17, s11
	s_lshl_b32 s3, s27, 7
	v_mad_u64_u32 v[49:50], null, v54, s20, v[169:170]
	v_add_nc_u32_e32 v56, s3, v55
	s_lshl_b32 s30, s2, 1
	v_mul_u32_u24_e32 v58, 0x408, v52
	v_mul_u32_u24_e32 v52, 0x208, v52
	v_lshlrev_b32_e32 v53, 3, v53
	s_waitcnt lgkmcnt(0)
	v_mad_u64_u32 v[50:51], null, v56, s21, v[169:170]
	v_lshlrev_b32_e32 v1, 1, v49
	v_add_lshl_u32 v13, v49, s20, 1
	v_add_nc_u32_e32 v5, 8, v49
	s_lshl_b32 s18, s18, 1
	v_bfe_u32 v51, v0, 1, 3
	buffer_load_b128 v[1:4], v1, s[16:19], 0 offen
	v_add_nc_u32_e32 v25, s21, v50
	v_lshlrev_b32_e32 v17, 1, v50
	v_add_nc_u32_e32 v26, 8, v50
	s_clause 0x1
	s_load_b32 s3, s[0:1], 0x34
	s_load_b32 s34, s[0:1], 0x40
	buffer_load_b128 v[13:16], v13, s[16:19], 0 offen
	v_add_nc_u32_e32 v37, s21, v25
	v_lshlrev_b32_e32 v21, 1, v25
	v_lshlrev_b32_e32 v6, 1, v5
	v_add_lshl_u32 v9, v5, s20, 1
	buffer_load_b128 v[17:20], v17, s[28:31], 0 offen
	v_lshlrev_b32_e32 v27, 1, v26
	v_add_nc_u32_e32 v41, 8, v37
	v_add_lshl_u32 v29, v26, s21, 1
	buffer_load_b128 v[21:24], v21, s[28:31], 0 offen
	v_lshlrev_b32_e32 v33, 1, v37
	v_add_lshl_u32 v37, v37, s21, 1
	s_clause 0x1
	buffer_load_b128 v[5:8], v6, s[16:19], 0 offen
	buffer_load_b128 v[9:12], v9, s[16:19], 0 offen
	s_clause 0x1
	buffer_load_b128 v[25:28], v27, s[28:31], 0 offen
	buffer_load_b128 v[29:32], v29, s[28:31], 0 offen
	v_lshlrev_b32_e32 v42, 1, v41
	v_add_lshl_u32 v45, v41, s21, 1
	s_clause 0x3
	buffer_load_b128 v[33:36], v33, s[28:31], 0 offen
	buffer_load_b128 v[37:40], v37, s[28:31], 0 offen
	;; [unrolled: 1-line block ×4, first 2 shown]
	v_and_or_b32 v51, v178, 8, v51
	v_add_lshl_u32 v171, v52, v53, 1
	v_add_nc_u32_e32 v52, 1, v54
	v_cmp_gt_i32_e32 vcc_lo, s22, v54
	v_add_nc_u32_e32 v54, 64, v49
	v_lshl_or_b32 v173, v51, 4, v57
	v_or_b32_e32 v51, 8, v169
	v_cmp_gt_i32_e64 s2, s22, v52
	v_add_nc_u32_e32 v52, 2, v56
	v_add_nc_u32_e32 v53, 3, v56
	;; [unrolled: 1-line block ×3, first 2 shown]
	s_waitcnt lgkmcnt(0)
	v_cmp_gt_i32_e64 s7, s34, v51
	v_cmp_gt_i32_e64 s10, s33, v51
	v_add_nc_u32_e32 v51, 1, v56
	v_lshlrev_b32_e32 v55, 3, v55
	v_cmp_gt_i32_e64 s4, s3, v52
	v_lshlrev_b32_e32 v52, 1, v54
	v_cmp_gt_i32_e64 s6, s3, v56
	v_cmp_gt_i32_e64 s5, s3, v51
	v_add_nc_u32_e32 v51, 64, v50
	v_add_nc_u32_e32 v50, 0x48, v50
	v_cmp_gt_i32_e64 s3, s3, v53
	v_lshlrev_b32_e32 v53, 1, v49
	v_add_lshl_u32 v172, v58, v55, 1
	v_add_lshl_u32 v49, v49, s20, 1
	v_add_nc_u32_e32 v55, s21, v51
	v_lshlrev_b32_e32 v51, 1, v51
	v_add_lshl_u32 v54, v54, s20, 1
	s_clause 0x1
	buffer_load_b128 v[125:128], v52, s[16:19], 0 offen
	buffer_load_b128 v[121:124], v53, s[16:19], 0 offen
	v_lshlrev_b32_e32 v53, 1, v50
	v_add_nc_u32_e32 v52, s21, v55
	s_clause 0x1
	buffer_load_b128 v[133:136], v49, s[16:19], 0 offen
	buffer_load_b128 v[129:132], v54, s[16:19], 0 offen
	s_clause 0x1
	buffer_load_b128 v[165:168], v51, s[28:31], 0 offen
	buffer_load_b128 v[157:160], v53, s[28:31], 0 offen
	v_add_lshl_u32 v49, v50, s21, 1
	v_add_nc_u32_e32 v50, 8, v52
	v_lshlrev_b32_e32 v51, 1, v55
	v_lshlrev_b32_e32 v53, 1, v52
	v_add_lshl_u32 v52, v52, s21, 1
	s_mov_b32 s16, 0
	v_lshlrev_b32_e32 v54, 1, v50
	v_add_lshl_u32 v50, v50, s21, 1
	s_clause 0x5
	buffer_load_b128 v[161:164], v49, s[28:31], 0 offen
	buffer_load_b128 v[153:156], v51, s[28:31], 0 offen
	;; [unrolled: 1-line block ×6, first 2 shown]
	s_mov_b32 s23, s16
	s_mov_b32 s19, s16
	;; [unrolled: 1-line block ×7, first 2 shown]
	v_mov_b32_e32 v112, s23
	v_mov_b32_e32 v108, s19
	v_cmp_gt_i32_e64 s9, s33, v169
	v_cmp_gt_i32_e64 s8, s34, v169
	v_dual_mov_b32 v111, s22 :: v_dual_lshlrev_b32 v170, 4, v179
	v_mov_b32_e32 v110, s21
	s_delay_alu instid0(VALU_DEP_4)
	s_and_b32 s11, s9, vcc_lo
	s_and_b32 s9, s9, s2
	v_mov_b32_e32 v109, s20
	v_dual_mov_b32 v107, s18 :: v_dual_mov_b32 v106, s17
	v_mov_b32_e32 v105, s16
	v_or_b32_e32 v174, 64, v169
	v_or_b32_e32 v169, 0x48, v169
	v_lshlrev_b32_e32 v179, 2, v179
	s_mov_b32 s28, s12
	s_mov_b32 s29, s13
	s_waitcnt vmcnt(23)
	v_cndmask_b32_e64 v4, 0, v4, s11
	v_cndmask_b32_e64 v3, 0, v3, s11
	;; [unrolled: 1-line block ×4, first 2 shown]
	s_and_b32 s11, s10, vcc_lo
	s_waitcnt vmcnt(22)
	v_cndmask_b32_e64 v16, 0, v16, s9
	v_cndmask_b32_e64 v15, 0, v15, s9
	;; [unrolled: 1-line block ×4, first 2 shown]
	s_and_b32 s9, s8, s6
	s_and_b32 s10, s10, s2
	s_waitcnt vmcnt(21)
	v_cndmask_b32_e64 v20, 0, v20, s9
	v_cndmask_b32_e64 v19, 0, v19, s9
	;; [unrolled: 1-line block ×4, first 2 shown]
	s_and_b32 s9, s8, s5
	s_waitcnt vmcnt(20)
	v_cndmask_b32_e64 v24, 0, v24, s9
	v_cndmask_b32_e64 v23, 0, v23, s9
	;; [unrolled: 1-line block ×4, first 2 shown]
	s_and_b32 s9, s7, s6
	ds_store_b128 v172, v[17:20]
	ds_store_b128 v172, v[21:24] offset:16
	s_waitcnt vmcnt(17)
	v_cndmask_b32_e64 v28, 0, v28, s9
	v_cndmask_b32_e64 v27, 0, v27, s9
	;; [unrolled: 1-line block ×4, first 2 shown]
	s_and_b32 s9, s7, s5
	v_cndmask_b32_e64 v8, 0, v8, s11
	s_waitcnt vmcnt(16)
	v_cndmask_b32_e64 v32, 0, v32, s9
	v_cndmask_b32_e64 v31, 0, v31, s9
	;; [unrolled: 1-line block ×4, first 2 shown]
	s_and_b32 s9, s8, s4
	s_and_b32 s8, s8, s3
	s_waitcnt vmcnt(15)
	v_cndmask_b32_e64 v36, 0, v36, s9
	v_cndmask_b32_e64 v35, 0, v35, s9
	;; [unrolled: 1-line block ×4, first 2 shown]
	s_waitcnt vmcnt(14)
	v_cndmask_b32_e64 v20, 0, v40, s8
	v_cndmask_b32_e64 v19, 0, v39, s8
	;; [unrolled: 1-line block ×4, first 2 shown]
	s_and_b32 s8, s7, s4
	s_and_b32 s7, s7, s3
	v_cndmask_b32_e64 v7, 0, v7, s11
	v_cndmask_b32_e64 v6, 0, v6, s11
	;; [unrolled: 1-line block ×3, first 2 shown]
	s_waitcnt vmcnt(13)
	v_cndmask_b32_e64 v24, 0, v44, s8
	v_cndmask_b32_e64 v23, 0, v43, s8
	v_cndmask_b32_e64 v22, 0, v42, s8
	v_cndmask_b32_e64 v21, 0, v41, s8
	s_waitcnt vmcnt(12)
	v_cndmask_b32_e64 v40, 0, v48, s7
	v_cndmask_b32_e64 v39, 0, v47, s7
	;; [unrolled: 1-line block ×8, first 2 shown]
	ds_store_b128 v172, v[29:32] offset:2080
	ds_store_b128 v172, v[25:28] offset:2064
	;; [unrolled: 1-line block ×10, first 2 shown]
	s_waitcnt vmcnt(0) lgkmcnt(0)
	s_barrier
	ds_load_b128 v[17:20], v173
	ds_load_b128 v[1:4], v173 offset:512
	ds_load_b128 v[5:8], v173 offset:2576
	;; [unrolled: 1-line block ×11, first 2 shown]
	v_cmp_gt_i32_e64 s7, s34, v174
	s_mov_b32 s11, s31
	s_mov_b32 s9, s15
	s_delay_alu instid0(VALU_DEP_1) | instskip(NEXT) | instid1(SALU_CYCLE_1)
	s_and_b32 s8, s7, s6
	v_cndmask_b32_e64 v168, 0, v168, s8
	v_cndmask_b32_e64 v167, 0, v167, s8
	;; [unrolled: 1-line block ×4, first 2 shown]
	v_cmp_gt_i32_e64 s8, s34, v169
	s_waitcnt lgkmcnt(6)
	v_wmma_f32_16x16x16_f16 v[81:88], v[1:8], v[25:32], v[105:112]
	s_waitcnt lgkmcnt(5)
	v_wmma_f32_16x16x16_f16 v[89:96], v[1:8], v[33:40], v[105:112]
	;; [unrolled: 2-line block ×4, first 2 shown]
	v_wmma_f32_16x16x16_f16 v[73:80], v[41:48], v[25:32], v[105:112]
	v_wmma_f32_16x16x16_f16 v[1:8], v[49:56], v[25:32], v[105:112]
	s_waitcnt lgkmcnt(0)
	v_wmma_f32_16x16x16_f16 v[97:104], v[17:24], v[33:40], v[105:112]
	v_wmma_f32_16x16x16_f16 v[105:112], v[17:24], v[25:32], v[105:112]
	ds_load_b128 v[17:20], v173 offset:4640
	ds_load_b128 v[21:24], v173 offset:6704
	;; [unrolled: 1-line block ×6, first 2 shown]
	s_and_b32 s6, s8, s6
	s_delay_alu instid0(SALU_CYCLE_1)
	v_cndmask_b32_e64 v160, 0, v160, s6
	v_cndmask_b32_e64 v159, 0, v159, s6
	;; [unrolled: 1-line block ×4, first 2 shown]
	s_and_b32 s6, s8, s5
	s_and_b32 s5, s7, s5
	v_cndmask_b32_e64 v164, 0, v164, s6
	v_cndmask_b32_e64 v156, 0, v156, s5
	;; [unrolled: 1-line block ×5, first 2 shown]
	s_and_b32 s5, s7, s4
	s_and_b32 s4, s8, s4
	v_cndmask_b32_e64 v152, 0, v152, s5
	v_cndmask_b32_e64 v151, 0, v151, s5
	s_waitcnt lgkmcnt(2)
	v_wmma_f32_16x16x16_f16 v[89:96], v[17:24], v[33:40], v[89:96]
	v_cndmask_b32_e64 v150, 0, v150, s5
	s_waitcnt lgkmcnt(0)
	v_wmma_f32_16x16x16_f16 v[81:88], v[17:24], v[25:32], v[81:88]
	ds_load_b128 v[21:24], v173 offset:7216
	ds_load_b128 v[17:20], v173 offset:5152
	;; [unrolled: 1-line block ×4, first 2 shown]
	v_cndmask_b32_e64 v149, 0, v149, s5
	s_and_b32 s5, s7, s3
	s_and_b32 s3, s8, s3
	v_cndmask_b32_e64 v148, 0, v148, s5
	v_cndmask_b32_e64 v147, 0, v147, s5
	v_cndmask_b32_e64 v146, 0, v146, s5
	v_cndmask_b32_e64 v145, 0, v145, s5
	v_cndmask_b32_e64 v163, 0, v163, s6
	v_cndmask_b32_e64 v162, 0, v162, s6
	v_cndmask_b32_e64 v161, 0, v161, s6
	s_waitcnt lgkmcnt(2)
	v_wmma_f32_16x16x16_f16 v[65:72], v[17:24], v[33:40], v[65:72]
	v_wmma_f32_16x16x16_f16 v[73:80], v[17:24], v[25:32], v[73:80]
	ds_load_b128 v[17:20], v173 offset:4128
	ds_load_b128 v[21:24], v173 offset:6192
	s_waitcnt lgkmcnt(2)
	v_wmma_f32_16x16x16_f16 v[9:16], v[41:48], v[33:40], v[9:16]
	v_wmma_f32_16x16x16_f16 v[1:8], v[41:48], v[25:32], v[1:8]
	s_waitcnt lgkmcnt(0)
	v_wmma_f32_16x16x16_f16 v[97:104], v[17:24], v[33:40], v[97:104]
	v_wmma_f32_16x16x16_f16 v[105:112], v[17:24], v[25:32], v[105:112]
	ds_load_b128 v[17:20], v173 offset:8768
	ds_load_b128 v[21:24], v173 offset:10832
	;; [unrolled: 1-line block ×6, first 2 shown]
	s_waitcnt lgkmcnt(2)
	v_wmma_f32_16x16x16_f16 v[89:96], v[17:24], v[33:40], v[89:96]
	s_waitcnt lgkmcnt(0)
	v_wmma_f32_16x16x16_f16 v[81:88], v[17:24], v[49:56], v[81:88]
	ds_load_b128 v[21:24], v173 offset:11344
	ds_load_b128 v[17:20], v173 offset:9280
	;; [unrolled: 1-line block ×4, first 2 shown]
	s_waitcnt lgkmcnt(2)
	v_wmma_f32_16x16x16_f16 v[65:72], v[17:24], v[33:40], v[65:72]
	v_wmma_f32_16x16x16_f16 v[73:80], v[17:24], v[49:56], v[73:80]
	ds_load_b128 v[17:20], v173 offset:8256
	ds_load_b128 v[21:24], v173 offset:10320
	s_waitcnt lgkmcnt(2)
	v_wmma_f32_16x16x16_f16 v[9:16], v[57:64], v[33:40], v[9:16]
	v_wmma_f32_16x16x16_f16 v[1:8], v[57:64], v[49:56], v[1:8]
	s_waitcnt lgkmcnt(0)
	v_wmma_f32_16x16x16_f16 v[97:104], v[17:24], v[33:40], v[97:104]
	v_wmma_f32_16x16x16_f16 v[105:112], v[17:24], v[49:56], v[105:112]
	ds_load_b128 v[33:36], v173 offset:12896
	ds_load_b128 v[37:40], v173 offset:14960
	;; [unrolled: 1-line block ×6, first 2 shown]
	s_waitcnt lgkmcnt(2)
	v_wmma_f32_16x16x16_f16 v[89:96], v[33:40], v[113:120], v[89:96]
	s_waitcnt lgkmcnt(0)
	v_wmma_f32_16x16x16_f16 v[81:88], v[33:40], v[17:24], v[81:88]
	ds_load_b128 v[184:187], v173 offset:15472
	ds_load_b128 v[180:183], v173 offset:13408
	;; [unrolled: 1-line block ×4, first 2 shown]
	s_waitcnt lgkmcnt(2)
	v_wmma_f32_16x16x16_f16 v[65:72], v[180:187], v[113:120], v[65:72]
	v_wmma_f32_16x16x16_f16 v[73:80], v[180:187], v[17:24], v[73:80]
	v_cndmask_b32_e64 v183, 0, v144, s4
	v_cndmask_b32_e64 v182, 0, v143, s4
	;; [unrolled: 1-line block ×8, first 2 shown]
	ds_load_b128 v[137:140], v173 offset:12384
	ds_load_b128 v[141:144], v173 offset:14448
	v_cmp_gt_i32_e64 s3, s33, v174
	s_waitcnt lgkmcnt(0)
	s_barrier
	ds_store_b128 v172, v[165:168]
	ds_store_b128 v172, v[153:156] offset:16
	ds_store_b128 v172, v[161:164] offset:2080
	;; [unrolled: 1-line block ×7, first 2 shown]
	v_wmma_f32_16x16x16_f16 v[9:16], v[33:40], v[113:120], v[9:16]
	s_and_b32 s4, s3, vcc_lo
	v_wmma_f32_16x16x16_f16 v[1:8], v[33:40], v[17:24], v[1:8]
	v_cndmask_b32_e64 v128, 0, v128, s4
	v_cndmask_b32_e64 v127, 0, v127, s4
	;; [unrolled: 1-line block ×4, first 2 shown]
	v_cmp_gt_i32_e64 s4, s33, v169
	s_delay_alu instid0(VALU_DEP_1)
	s_and_b32 s5, s4, s2
	s_and_b32 s2, s3, s2
	s_and_b32 vcc_lo, s4, vcc_lo
	v_cndmask_b32_e64 v132, 0, v132, s2
	v_cndmask_b32_e64 v131, 0, v131, s2
	;; [unrolled: 1-line block ×8, first 2 shown]
	v_dual_cndmask_b32 v124, 0, v124 :: v_dual_cndmask_b32 v123, 0, v123
	v_dual_cndmask_b32 v122, 0, v122 :: v_dual_cndmask_b32 v121, 0, v121
	ds_store_b128 v171, v[125:128] offset:16496
	ds_store_b128 v171, v[129:132] offset:16512
	;; [unrolled: 1-line block ×4, first 2 shown]
	s_waitcnt lgkmcnt(0)
	s_barrier
	v_wmma_f32_16x16x16_f16 v[97:104], v[137:144], v[113:120], v[97:104]
	ds_load_b128 v[121:124], v173 offset:512
	ds_load_b128 v[125:128], v173 offset:2576
	;; [unrolled: 1-line block ×6, first 2 shown]
	v_wmma_f32_16x16x16_f16 v[105:112], v[137:144], v[17:24], v[105:112]
	s_waitcnt lgkmcnt(2)
	v_wmma_f32_16x16x16_f16 v[89:96], v[121:128], v[129:136], v[89:96]
	s_waitcnt lgkmcnt(0)
	v_wmma_f32_16x16x16_f16 v[81:88], v[121:128], v[113:120], v[81:88]
	ds_load_b128 v[141:144], v173 offset:3088
	ds_load_b128 v[137:140], v173 offset:1024
	;; [unrolled: 1-line block ×4, first 2 shown]
	s_waitcnt lgkmcnt(2)
	v_wmma_f32_16x16x16_f16 v[65:72], v[137:144], v[129:136], v[65:72]
	v_wmma_f32_16x16x16_f16 v[73:80], v[137:144], v[113:120], v[73:80]
	ds_load_b128 v[137:140], v173
	ds_load_b128 v[141:144], v173 offset:2064
	s_waitcnt lgkmcnt(2)
	v_wmma_f32_16x16x16_f16 v[9:16], v[121:128], v[129:136], v[9:16]
	v_wmma_f32_16x16x16_f16 v[1:8], v[121:128], v[113:120], v[1:8]
	s_waitcnt lgkmcnt(0)
	v_wmma_f32_16x16x16_f16 v[97:104], v[137:144], v[129:136], v[97:104]
	v_wmma_f32_16x16x16_f16 v[105:112], v[137:144], v[113:120], v[105:112]
	ds_load_b128 v[137:140], v173 offset:4640
	ds_load_b128 v[141:144], v173 offset:6704
	ds_load_b128 v[145:148], v170 offset:19088
	ds_load_b128 v[149:152], v170 offset:20128
	ds_load_b128 v[129:132], v170 offset:18576
	ds_load_b128 v[133:136], v170 offset:19616
	s_waitcnt lgkmcnt(2)
	v_wmma_f32_16x16x16_f16 v[89:96], v[137:144], v[145:152], v[89:96]
	s_waitcnt lgkmcnt(0)
	v_wmma_f32_16x16x16_f16 v[81:88], v[137:144], v[129:136], v[81:88]
	ds_load_b128 v[157:160], v173 offset:7216
	ds_load_b128 v[153:156], v173 offset:5152
	;; [unrolled: 1-line block ×4, first 2 shown]
	s_waitcnt lgkmcnt(2)
	v_wmma_f32_16x16x16_f16 v[65:72], v[153:160], v[145:152], v[65:72]
	v_wmma_f32_16x16x16_f16 v[73:80], v[153:160], v[129:136], v[73:80]
	ds_load_b128 v[153:156], v173 offset:4128
	ds_load_b128 v[157:160], v173 offset:6192
	s_waitcnt lgkmcnt(2)
	v_wmma_f32_16x16x16_f16 v[9:16], v[137:144], v[145:152], v[9:16]
	v_wmma_f32_16x16x16_f16 v[1:8], v[137:144], v[129:136], v[1:8]
	s_waitcnt lgkmcnt(0)
	v_wmma_f32_16x16x16_f16 v[97:104], v[153:160], v[145:152], v[97:104]
	v_wmma_f32_16x16x16_f16 v[105:112], v[153:160], v[129:136], v[105:112]
	ds_load_b128 v[153:156], v173 offset:8768
	ds_load_b128 v[157:160], v173 offset:10832
	;; [unrolled: 1-line block ×6, first 2 shown]
	s_waitcnt lgkmcnt(2)
	v_wmma_f32_16x16x16_f16 v[89:96], v[153:160], v[161:168], v[89:96]
	s_waitcnt lgkmcnt(0)
	v_wmma_f32_16x16x16_f16 v[81:88], v[153:160], v[145:152], v[81:88]
	ds_load_b128 v[184:187], v173 offset:11344
	ds_load_b128 v[180:183], v173 offset:9280
	ds_load_b128 v[153:156], v173 offset:9792
	ds_load_b128 v[157:160], v173 offset:11856
	s_waitcnt lgkmcnt(2)
	v_wmma_f32_16x16x16_f16 v[65:72], v[180:187], v[161:168], v[65:72]
	v_wmma_f32_16x16x16_f16 v[73:80], v[180:187], v[145:152], v[73:80]
	ds_load_b128 v[180:183], v173 offset:8256
	ds_load_b128 v[184:187], v173 offset:10320
	s_waitcnt lgkmcnt(2)
	v_wmma_f32_16x16x16_f16 v[9:16], v[153:160], v[161:168], v[9:16]
	v_wmma_f32_16x16x16_f16 v[1:8], v[153:160], v[145:152], v[1:8]
	s_waitcnt lgkmcnt(0)
	v_wmma_f32_16x16x16_f16 v[97:104], v[180:187], v[161:168], v[97:104]
	v_wmma_f32_16x16x16_f16 v[105:112], v[180:187], v[145:152], v[105:112]
	ds_load_b128 v[165:168], v170 offset:23776
	ds_load_b128 v[161:164], v170 offset:22736
	;; [unrolled: 1-line block ×8, first 2 shown]
	s_waitcnt lgkmcnt(2)
	v_wmma_f32_16x16x16_f16 v[97:104], v[188:195], v[180:187], v[97:104]
	v_wmma_f32_16x16x16_f16 v[105:112], v[188:195], v[161:168], v[105:112]
	ds_load_b128 v[192:195], v173 offset:15472
	ds_load_b128 v[188:191], v173 offset:13408
	ds_load_b128 v[169:172], v173 offset:13920
	ds_load_b128 v[173:176], v173 offset:15984
	s_waitcnt lgkmcnt(4)
	v_wmma_f32_16x16x16_f16 v[89:96], v[196:203], v[180:187], v[89:96]
	s_waitcnt lgkmcnt(0)
	s_barrier
	v_wmma_f32_16x16x16_f16 v[81:88], v[196:203], v[161:168], v[81:88]
	v_wmma_f32_16x16x16_f16 v[65:72], v[188:195], v[180:187], v[65:72]
	;; [unrolled: 1-line block ×4, first 2 shown]
	v_lshrrev_b32_e32 v180, 2, v0
	v_wmma_f32_16x16x16_f16 v[1:8], v[169:176], v[161:168], v[1:8]
	s_delay_alu instid0(VALU_DEP_2) | instskip(NEXT) | instid1(VALU_DEP_1)
	v_and_or_b32 v177, v180, 16, v177
	v_lshl_or_b32 v177, v177, 7, v179
	ds_store_2addr_b32 v177, v105, v106 offset1:32
	ds_store_2addr_b32 v177, v107, v108 offset0:64 offset1:96
	ds_store_2addr_b32 v177, v109, v110 offset0:128 offset1:160
	;; [unrolled: 1-line block ×3, first 2 shown]
	s_clause 0x7
	s_load_b32 s17, s[0:1], 0xd0
	s_load_b32 s5, s[0:1], 0xc4
	;; [unrolled: 1-line block ×8, first 2 shown]
	v_lshrrev_b32_e32 v105, 7, v0
	v_bfe_u32 v0, v0, 2, 5
	v_and_b32_e32 v106, 24, v178
	s_waitcnt lgkmcnt(0)
	s_barrier
	v_lshlrev_b32_e32 v107, 10, v105
	v_add_nc_u32_e32 v105, s27, v105
	v_or_b32_e32 v112, s26, v106
	v_lshlrev_b32_e32 v108, 5, v0
	s_delay_alu instid0(VALU_DEP_3) | instskip(NEXT) | instid1(VALU_DEP_3)
	v_lshl_or_b32 v105, v105, 7, v0
	v_cmp_gt_i32_e32 vcc_lo, s17, v112
	s_delay_alu instid0(VALU_DEP_3) | instskip(SKIP_1) | instid1(VALU_DEP_3)
	v_or3_b32 v107, v108, v107, v106
	s_lshl_b32 s30, s3, 1
	v_mad_u64_u32 v[182:183], null, v105, s4, v[112:113]
	s_delay_alu instid0(VALU_DEP_2) | instskip(SKIP_4) | instid1(VALU_DEP_4)
	v_lshlrev_b32_e32 v0, 2, v107
	v_cmp_gt_i32_e64 s2, s5, v105
	v_cmp_gt_i32_e64 s3, s6, v105
	s_lshl_b32 s10, s1, 1
	s_lshl_b32 s12, s16, 5
	v_lshlrev_b32_e32 v106, 1, v182
	s_and_b32 s0, vcc_lo, s2
	buffer_load_b128 v[106:109], v106, s[28:31], 0 offen
	s_waitcnt vmcnt(0)
	v_cndmask_b32_e64 v179, 0, v108, s0
	v_cndmask_b32_e64 v178, 0, v109, s0
	s_delay_alu instid0(VALU_DEP_2) | instskip(NEXT) | instid1(VALU_DEP_1)
	v_cvt_f32_f16_e64 v108, v179
	v_mul_f32_e32 v180, s25, v108
	s_delay_alu instid0(VALU_DEP_3) | instskip(NEXT) | instid1(VALU_DEP_1)
	v_cvt_f32_f16_e64 v108, v178
	v_mul_f32_e32 v181, s25, v108
	ds_load_b128 v[108:111], v0 offset:16
	s_waitcnt lgkmcnt(0)
	v_fma_mixlo_f16 v180, s24, v108, v180
	v_lshrrev_b32_e32 v108, 16, v178
	v_fma_mixlo_f16 v181, s24, v110, v181
	v_cndmask_b32_e64 v110, 0, v106, s0
	s_delay_alu instid0(VALU_DEP_3) | instskip(NEXT) | instid1(VALU_DEP_2)
	v_cvt_f32_f16_e32 v108, v108
	v_cvt_f32_f16_e32 v106, v110
	s_delay_alu instid0(VALU_DEP_2) | instskip(NEXT) | instid1(VALU_DEP_2)
	v_mul_f32_e32 v108, s25, v108
	v_mul_f32_e32 v178, s25, v106
	s_delay_alu instid0(VALU_DEP_2) | instskip(SKIP_3) | instid1(VALU_DEP_3)
	v_fma_mixhi_f16 v181, s24, v111, v108
	v_lshrrev_b32_e32 v108, 16, v179
	v_cndmask_b32_e64 v111, 0, v107, s0
	v_cmp_gt_i32_e64 s0, s7, v112
	v_cvt_f32_f16_e32 v108, v108
	s_delay_alu instid0(VALU_DEP_2) | instskip(NEXT) | instid1(VALU_DEP_1)
	s_and_b32 s8, s0, s3
	v_mul_f32_e32 v108, s25, v108
	s_delay_alu instid0(VALU_DEP_1) | instskip(SKIP_4) | instid1(VALU_DEP_1)
	v_fma_mixhi_f16 v180, s24, v109, v108
	ds_load_b128 v[106:109], v0
	s_waitcnt lgkmcnt(0)
	v_fma_mixlo_f16 v178, s24, v106, v178
	v_cvt_f32_f16_e32 v106, v111
	v_mul_f32_e32 v106, s25, v106
	s_delay_alu instid0(VALU_DEP_1) | instskip(SKIP_3) | instid1(VALU_DEP_2)
	v_fma_mixlo_f16 v179, s24, v108, v106
	v_lshrrev_b32_e32 v106, 16, v111
	v_cndmask_b32_e64 v108, 0x80000000, 0, s8
	s_mov_b32 s8, s14
	v_cvt_f32_f16_e32 v106, v106
	s_delay_alu instid0(VALU_DEP_1) | instskip(NEXT) | instid1(VALU_DEP_1)
	v_mul_f32_e32 v106, s25, v106
	v_fma_mixhi_f16 v179, s24, v109, v106
	v_lshrrev_b32_e32 v106, 16, v110
	s_delay_alu instid0(VALU_DEP_1) | instskip(NEXT) | instid1(VALU_DEP_1)
	v_cvt_f32_f16_e32 v106, v106
	v_mul_f32_e32 v106, s25, v106
	s_delay_alu instid0(VALU_DEP_1) | instskip(SKIP_1) | instid1(VALU_DEP_1)
	v_fma_mixhi_f16 v178, s24, v107, v106
	v_mad_u64_u32 v[106:107], null, v105, s16, v[112:113]
	v_lshl_add_u32 v107, v106, 1, v108
	v_add_nc_u32_e32 v108, 32, v182
	buffer_store_b128 v[178:181], v107, s[8:11], 0 offen
	s_waitcnt lgkmcnt(0)
	s_waitcnt_vscnt null, 0x0
	s_barrier
	ds_store_2addr_b32 v177, v97, v98 offset1:32
	ds_store_2addr_b32 v177, v99, v100 offset0:64 offset1:96
	ds_store_2addr_b32 v177, v101, v102 offset0:128 offset1:160
	;; [unrolled: 1-line block ×3, first 2 shown]
	v_lshlrev_b32_e32 v97, 1, v108
	s_waitcnt lgkmcnt(0)
	s_barrier
	v_or_b32_e32 v107, 32, v112
	buffer_load_b128 v[97:100], v97, s[28:31], 0 offen
	v_cmp_gt_i32_e64 s1, s17, v107
	s_delay_alu instid0(VALU_DEP_1) | instskip(SKIP_3) | instid1(VALU_DEP_2)
	s_and_b32 s2, s2, s1
	s_waitcnt vmcnt(0)
	v_cndmask_b32_e64 v110, 0, v99, s2
	v_cndmask_b32_e64 v109, 0, v100, s2
	v_cvt_f32_f16_e32 v99, v110
	s_delay_alu instid0(VALU_DEP_1) | instskip(NEXT) | instid1(VALU_DEP_3)
	v_mul_f32_e32 v103, s25, v99
	v_cvt_f32_f16_e32 v99, v109
	s_delay_alu instid0(VALU_DEP_1)
	v_mul_f32_e32 v104, s25, v99
	ds_load_b128 v[99:102], v0 offset:16
	s_waitcnt lgkmcnt(0)
	v_fma_mixlo_f16 v103, s24, v99, v103
	v_lshrrev_b32_e32 v99, 16, v109
	v_fma_mixlo_f16 v104, s24, v101, v104
	v_cndmask_b32_e64 v109, 0, v97, s2
	s_delay_alu instid0(VALU_DEP_3) | instskip(NEXT) | instid1(VALU_DEP_2)
	v_cvt_f32_f16_e32 v99, v99
	v_cvt_f32_f16_e32 v97, v109
	s_delay_alu instid0(VALU_DEP_2) | instskip(NEXT) | instid1(VALU_DEP_2)
	v_mul_f32_e32 v99, s25, v99
	v_mul_f32_e32 v101, s25, v97
	s_delay_alu instid0(VALU_DEP_2) | instskip(SKIP_4) | instid1(VALU_DEP_3)
	v_fma_mixhi_f16 v104, s24, v102, v99
	v_lshrrev_b32_e32 v99, 16, v110
	v_cndmask_b32_e64 v110, 0, v98, s2
	v_cmp_gt_i32_e64 s2, s7, v107
	s_lshl_b32 s7, s4, 5
	v_cvt_f32_f16_e32 v99, v99
	s_delay_alu instid0(VALU_DEP_2) | instskip(NEXT) | instid1(VALU_DEP_1)
	s_and_b32 s3, s3, s2
	v_mul_f32_e32 v99, s25, v99
	s_delay_alu instid0(VALU_DEP_1) | instskip(SKIP_4) | instid1(VALU_DEP_1)
	v_fma_mixhi_f16 v103, s24, v100, v99
	ds_load_b128 v[97:100], v0
	s_waitcnt lgkmcnt(0)
	v_fma_mixlo_f16 v101, s24, v97, v101
	v_cvt_f32_f16_e32 v97, v110
	v_mul_f32_e32 v97, s25, v97
	s_delay_alu instid0(VALU_DEP_1) | instskip(SKIP_1) | instid1(VALU_DEP_1)
	v_fma_mixlo_f16 v102, s24, v99, v97
	v_lshrrev_b32_e32 v97, 16, v110
	v_cvt_f32_f16_e32 v97, v97
	s_delay_alu instid0(VALU_DEP_1) | instskip(NEXT) | instid1(VALU_DEP_1)
	v_mul_f32_e32 v97, s25, v97
	v_fma_mixhi_f16 v102, s24, v100, v97
	v_lshrrev_b32_e32 v97, 16, v109
	s_delay_alu instid0(VALU_DEP_1) | instskip(NEXT) | instid1(VALU_DEP_1)
	v_cvt_f32_f16_e32 v97, v97
	v_mul_f32_e32 v97, s25, v97
	s_delay_alu instid0(VALU_DEP_1) | instskip(SKIP_2) | instid1(VALU_DEP_1)
	v_fma_mixhi_f16 v101, s24, v98, v97
	v_cndmask_b32_e64 v97, 0x80000000, 0, s3
	v_add_nc_u32_e32 v98, 32, v106
	v_lshl_add_u32 v97, v98, 1, v97
	buffer_store_b128 v[101:104], v97, s[8:11], 0 offen
	s_waitcnt lgkmcnt(0)
	s_waitcnt_vscnt null, 0x0
	s_barrier
	ds_store_2addr_b32 v177, v89, v90 offset1:32
	ds_store_2addr_b32 v177, v91, v92 offset0:64 offset1:96
	ds_store_2addr_b32 v177, v93, v94 offset0:128 offset1:160
	;; [unrolled: 1-line block ×3, first 2 shown]
	v_add_lshl_u32 v89, v108, s7, 1
	s_waitcnt lgkmcnt(0)
	s_barrier
	v_or_b32_e32 v97, 32, v105
	buffer_load_b128 v[89:92], v89, s[28:31], 0 offen
	v_cmp_gt_i32_e64 s3, s5, v97
	s_delay_alu instid0(VALU_DEP_1) | instskip(SKIP_4) | instid1(VALU_DEP_2)
	s_and_b32 s4, s1, s3
	s_and_b32 s3, vcc_lo, s3
	s_waitcnt vmcnt(0)
	v_cndmask_b32_e64 v100, 0, v91, s4
	v_cndmask_b32_e64 v99, 0, v92, s4
	v_cvt_f32_f16_e32 v91, v100
	s_delay_alu instid0(VALU_DEP_1) | instskip(NEXT) | instid1(VALU_DEP_3)
	v_mul_f32_e32 v95, s25, v91
	v_cvt_f32_f16_e32 v91, v99
	s_delay_alu instid0(VALU_DEP_1)
	v_mul_f32_e32 v96, s25, v91
	ds_load_b128 v[91:94], v0 offset:16
	s_waitcnt lgkmcnt(0)
	v_fma_mixlo_f16 v95, s24, v91, v95
	v_lshrrev_b32_e32 v91, 16, v99
	v_fma_mixlo_f16 v96, s24, v93, v96
	v_cndmask_b32_e64 v99, 0, v89, s4
	s_delay_alu instid0(VALU_DEP_3) | instskip(NEXT) | instid1(VALU_DEP_2)
	v_cvt_f32_f16_e32 v91, v91
	v_cvt_f32_f16_e32 v89, v99
	s_delay_alu instid0(VALU_DEP_2) | instskip(NEXT) | instid1(VALU_DEP_2)
	v_mul_f32_e32 v91, s25, v91
	v_mul_f32_e32 v93, s25, v89
	s_delay_alu instid0(VALU_DEP_2) | instskip(SKIP_3) | instid1(VALU_DEP_3)
	v_fma_mixhi_f16 v96, s24, v94, v91
	v_lshrrev_b32_e32 v91, 16, v100
	v_cndmask_b32_e64 v100, 0, v90, s4
	v_cmp_gt_i32_e64 s4, s6, v97
	v_cvt_f32_f16_e32 v91, v91
	s_delay_alu instid0(VALU_DEP_2) | instskip(NEXT) | instid1(VALU_DEP_1)
	s_and_b32 s13, s2, s4
	v_mul_f32_e32 v91, s25, v91
	s_delay_alu instid0(VALU_DEP_1) | instskip(SKIP_4) | instid1(VALU_DEP_1)
	v_fma_mixhi_f16 v95, s24, v92, v91
	ds_load_b128 v[89:92], v0
	s_waitcnt lgkmcnt(0)
	v_fma_mixlo_f16 v93, s24, v89, v93
	v_cvt_f32_f16_e32 v89, v100
	v_mul_f32_e32 v89, s25, v89
	s_delay_alu instid0(VALU_DEP_1) | instskip(SKIP_1) | instid1(VALU_DEP_1)
	v_fma_mixlo_f16 v94, s24, v91, v89
	v_lshrrev_b32_e32 v89, 16, v100
	v_cvt_f32_f16_e32 v89, v89
	s_delay_alu instid0(VALU_DEP_1) | instskip(NEXT) | instid1(VALU_DEP_1)
	v_mul_f32_e32 v89, s25, v89
	v_fma_mixhi_f16 v94, s24, v92, v89
	v_lshrrev_b32_e32 v89, 16, v99
	s_delay_alu instid0(VALU_DEP_1) | instskip(NEXT) | instid1(VALU_DEP_1)
	v_cvt_f32_f16_e32 v89, v89
	v_mul_f32_e32 v89, s25, v89
	s_delay_alu instid0(VALU_DEP_1) | instskip(SKIP_2) | instid1(VALU_DEP_1)
	v_fma_mixhi_f16 v93, s24, v90, v89
	v_add_nc_u32_e32 v89, s12, v98
	v_cndmask_b32_e64 v90, 0x80000000, 0, s13
	v_lshl_add_u32 v89, v89, 1, v90
	buffer_store_b128 v[93:96], v89, s[8:11], 0 offen
	v_add_nc_u32_e32 v89, s7, v182
	s_waitcnt lgkmcnt(0)
	s_waitcnt_vscnt null, 0x0
	s_barrier
	ds_store_2addr_b32 v177, v81, v82 offset1:32
	ds_store_2addr_b32 v177, v83, v84 offset0:64 offset1:96
	ds_store_2addr_b32 v177, v85, v86 offset0:128 offset1:160
	ds_store_2addr_b32 v177, v87, v88 offset0:192 offset1:224
	s_waitcnt lgkmcnt(0)
	v_lshlrev_b32_e32 v81, 1, v89
	s_barrier
	buffer_load_b128 v[81:84], v81, s[28:31], 0 offen
	s_waitcnt vmcnt(0)
	v_cndmask_b32_e64 v91, 0, v83, s3
	v_cndmask_b32_e64 v90, 0, v84, s3
	s_delay_alu instid0(VALU_DEP_2) | instskip(NEXT) | instid1(VALU_DEP_1)
	v_cvt_f32_f16_e32 v83, v91
	v_mul_f32_e32 v87, s25, v83
	s_delay_alu instid0(VALU_DEP_3) | instskip(NEXT) | instid1(VALU_DEP_1)
	v_cvt_f32_f16_e32 v83, v90
	v_mul_f32_e32 v88, s25, v83
	ds_load_b128 v[83:86], v0 offset:16
	s_waitcnt lgkmcnt(0)
	v_fma_mixlo_f16 v87, s24, v83, v87
	v_lshrrev_b32_e32 v83, 16, v90
	v_fma_mixlo_f16 v88, s24, v85, v88
	v_cndmask_b32_e64 v90, 0, v81, s3
	s_delay_alu instid0(VALU_DEP_3) | instskip(NEXT) | instid1(VALU_DEP_2)
	v_cvt_f32_f16_e32 v83, v83
	v_cvt_f32_f16_e32 v81, v90
	s_delay_alu instid0(VALU_DEP_2) | instskip(NEXT) | instid1(VALU_DEP_2)
	v_mul_f32_e32 v83, s25, v83
	v_mul_f32_e32 v85, s25, v81
	s_delay_alu instid0(VALU_DEP_2) | instskip(SKIP_3) | instid1(VALU_DEP_2)
	v_fma_mixhi_f16 v88, s24, v86, v83
	v_lshrrev_b32_e32 v83, 16, v91
	v_cndmask_b32_e64 v91, 0, v82, s3
	s_and_b32 s3, s0, s4
	v_cvt_f32_f16_e32 v83, v83
	s_delay_alu instid0(VALU_DEP_1) | instskip(NEXT) | instid1(VALU_DEP_1)
	v_mul_f32_e32 v83, s25, v83
	v_fma_mixhi_f16 v87, s24, v84, v83
	ds_load_b128 v[81:84], v0
	s_waitcnt lgkmcnt(0)
	v_fma_mixlo_f16 v85, s24, v81, v85
	v_cvt_f32_f16_e32 v81, v91
	s_delay_alu instid0(VALU_DEP_1) | instskip(NEXT) | instid1(VALU_DEP_1)
	v_mul_f32_e32 v81, s25, v81
	v_fma_mixlo_f16 v86, s24, v83, v81
	v_lshrrev_b32_e32 v81, 16, v91
	v_or_b32_e32 v83, 64, v105
	s_delay_alu instid0(VALU_DEP_2) | instskip(NEXT) | instid1(VALU_DEP_1)
	v_cvt_f32_f16_e32 v81, v81
	v_mul_f32_e32 v81, s25, v81
	s_delay_alu instid0(VALU_DEP_1) | instskip(SKIP_1) | instid1(VALU_DEP_1)
	v_fma_mixhi_f16 v86, s24, v84, v81
	v_lshrrev_b32_e32 v81, 16, v90
	v_cvt_f32_f16_e32 v81, v81
	s_delay_alu instid0(VALU_DEP_1) | instskip(NEXT) | instid1(VALU_DEP_1)
	v_mul_f32_e32 v81, s25, v81
	v_fma_mixhi_f16 v85, s24, v82, v81
	v_add_nc_u32_e32 v82, s12, v106
	v_cndmask_b32_e64 v81, 0x80000000, 0, s3
	v_cmp_gt_i32_e64 s3, s5, v83
	s_delay_alu instid0(VALU_DEP_2) | instskip(NEXT) | instid1(VALU_DEP_2)
	v_lshl_add_u32 v81, v82, 1, v81
	s_and_b32 s4, vcc_lo, s3
	s_and_b32 s3, s1, s3
	buffer_store_b128 v[85:88], v81, s[8:11], 0 offen
	s_waitcnt lgkmcnt(0)
	s_waitcnt_vscnt null, 0x0
	s_barrier
	ds_store_2addr_b32 v177, v73, v74 offset1:32
	ds_store_2addr_b32 v177, v75, v76 offset0:64 offset1:96
	ds_store_2addr_b32 v177, v77, v78 offset0:128 offset1:160
	;; [unrolled: 1-line block ×3, first 2 shown]
	v_add_nc_u32_e32 v73, s7, v89
	s_waitcnt lgkmcnt(0)
	s_barrier
	s_delay_alu instid0(VALU_DEP_1) | instskip(SKIP_4) | instid1(VALU_DEP_2)
	v_lshlrev_b32_e32 v74, 1, v73
	buffer_load_b128 v[74:77], v74, s[28:31], 0 offen
	s_waitcnt vmcnt(0)
	v_cndmask_b32_e64 v85, 0, v76, s4
	v_cndmask_b32_e64 v84, 0, v77, s4
	v_cvt_f32_f16_e32 v76, v85
	s_delay_alu instid0(VALU_DEP_1) | instskip(NEXT) | instid1(VALU_DEP_3)
	v_mul_f32_e32 v80, s25, v76
	v_cvt_f32_f16_e32 v76, v84
	s_delay_alu instid0(VALU_DEP_1)
	v_mul_f32_e32 v81, s25, v76
	ds_load_b128 v[76:79], v0 offset:16
	s_waitcnt lgkmcnt(0)
	v_fma_mixlo_f16 v80, s24, v76, v80
	v_lshrrev_b32_e32 v76, 16, v84
	v_fma_mixlo_f16 v81, s24, v78, v81
	v_cndmask_b32_e64 v84, 0, v74, s4
	s_delay_alu instid0(VALU_DEP_3) | instskip(NEXT) | instid1(VALU_DEP_2)
	v_cvt_f32_f16_e32 v76, v76
	v_cvt_f32_f16_e32 v74, v84
	s_delay_alu instid0(VALU_DEP_2) | instskip(NEXT) | instid1(VALU_DEP_2)
	v_mul_f32_e32 v76, s25, v76
	v_mul_f32_e32 v78, s25, v74
	s_delay_alu instid0(VALU_DEP_2) | instskip(SKIP_3) | instid1(VALU_DEP_3)
	v_fma_mixhi_f16 v81, s24, v79, v76
	v_lshrrev_b32_e32 v76, 16, v85
	v_cndmask_b32_e64 v85, 0, v75, s4
	v_cmp_gt_i32_e64 s4, s6, v83
	v_cvt_f32_f16_e32 v76, v76
	s_delay_alu instid0(VALU_DEP_2) | instskip(NEXT) | instid1(VALU_DEP_1)
	s_and_b32 s13, s0, s4
	v_mul_f32_e32 v76, s25, v76
	s_delay_alu instid0(VALU_DEP_1) | instskip(SKIP_4) | instid1(VALU_DEP_1)
	v_fma_mixhi_f16 v80, s24, v77, v76
	ds_load_b128 v[74:77], v0
	s_waitcnt lgkmcnt(0)
	v_fma_mixlo_f16 v78, s24, v74, v78
	v_cvt_f32_f16_e32 v74, v85
	v_mul_f32_e32 v74, s25, v74
	s_delay_alu instid0(VALU_DEP_1) | instskip(SKIP_1) | instid1(VALU_DEP_1)
	v_fma_mixlo_f16 v79, s24, v76, v74
	v_lshrrev_b32_e32 v74, 16, v85
	v_cvt_f32_f16_e32 v74, v74
	s_delay_alu instid0(VALU_DEP_1) | instskip(NEXT) | instid1(VALU_DEP_1)
	v_mul_f32_e32 v74, s25, v74
	v_fma_mixhi_f16 v79, s24, v77, v74
	v_lshrrev_b32_e32 v74, 16, v84
	s_delay_alu instid0(VALU_DEP_1) | instskip(NEXT) | instid1(VALU_DEP_1)
	v_cvt_f32_f16_e32 v74, v74
	v_mul_f32_e32 v74, s25, v74
	s_delay_alu instid0(VALU_DEP_1) | instskip(SKIP_2) | instid1(VALU_DEP_1)
	v_fma_mixhi_f16 v78, s24, v75, v74
	v_add_nc_u32_e32 v74, s12, v82
	v_cndmask_b32_e64 v75, 0x80000000, 0, s13
	v_lshl_add_u32 v75, v74, 1, v75
	buffer_store_b128 v[78:81], v75, s[8:11], 0 offen
	v_add_nc_u32_e32 v75, 32, v73
	s_waitcnt lgkmcnt(0)
	s_waitcnt_vscnt null, 0x0
	s_barrier
	ds_store_2addr_b32 v177, v65, v66 offset1:32
	ds_store_2addr_b32 v177, v67, v68 offset0:64 offset1:96
	ds_store_2addr_b32 v177, v69, v70 offset0:128 offset1:160
	ds_store_2addr_b32 v177, v71, v72 offset0:192 offset1:224
	s_waitcnt lgkmcnt(0)
	v_lshlrev_b32_e32 v65, 1, v75
	s_barrier
	buffer_load_b128 v[65:68], v65, s[28:31], 0 offen
	s_waitcnt vmcnt(0)
	v_cndmask_b32_e64 v77, 0, v67, s3
	v_cndmask_b32_e64 v76, 0, v68, s3
	s_delay_alu instid0(VALU_DEP_2) | instskip(NEXT) | instid1(VALU_DEP_1)
	v_cvt_f32_f16_e32 v67, v77
	v_mul_f32_e32 v71, s25, v67
	s_delay_alu instid0(VALU_DEP_3) | instskip(NEXT) | instid1(VALU_DEP_1)
	v_cvt_f32_f16_e32 v67, v76
	v_mul_f32_e32 v72, s25, v67
	ds_load_b128 v[67:70], v0 offset:16
	s_waitcnt lgkmcnt(0)
	v_fma_mixlo_f16 v71, s24, v67, v71
	v_lshrrev_b32_e32 v67, 16, v76
	v_fma_mixlo_f16 v72, s24, v69, v72
	v_cndmask_b32_e64 v76, 0, v65, s3
	s_delay_alu instid0(VALU_DEP_3) | instskip(NEXT) | instid1(VALU_DEP_2)
	v_cvt_f32_f16_e32 v67, v67
	v_cvt_f32_f16_e32 v65, v76
	s_delay_alu instid0(VALU_DEP_2) | instskip(NEXT) | instid1(VALU_DEP_2)
	v_mul_f32_e32 v67, s25, v67
	v_mul_f32_e32 v69, s25, v65
	s_delay_alu instid0(VALU_DEP_2) | instskip(SKIP_3) | instid1(VALU_DEP_2)
	v_fma_mixhi_f16 v72, s24, v70, v67
	v_lshrrev_b32_e32 v67, 16, v77
	v_cndmask_b32_e64 v77, 0, v66, s3
	s_and_b32 s3, s2, s4
	v_cvt_f32_f16_e32 v67, v67
	s_delay_alu instid0(VALU_DEP_1) | instskip(NEXT) | instid1(VALU_DEP_1)
	v_mul_f32_e32 v67, s25, v67
	v_fma_mixhi_f16 v71, s24, v68, v67
	ds_load_b128 v[65:68], v0
	s_waitcnt lgkmcnt(0)
	v_fma_mixlo_f16 v69, s24, v65, v69
	v_cvt_f32_f16_e32 v65, v77
	s_delay_alu instid0(VALU_DEP_1) | instskip(NEXT) | instid1(VALU_DEP_1)
	v_mul_f32_e32 v65, s25, v65
	v_fma_mixlo_f16 v70, s24, v67, v65
	v_lshrrev_b32_e32 v65, 16, v77
	v_add_lshl_u32 v67, v75, s7, 1
	s_delay_alu instid0(VALU_DEP_2) | instskip(NEXT) | instid1(VALU_DEP_1)
	v_cvt_f32_f16_e32 v65, v65
	v_mul_f32_e32 v65, s25, v65
	s_delay_alu instid0(VALU_DEP_1) | instskip(SKIP_1) | instid1(VALU_DEP_1)
	v_fma_mixhi_f16 v70, s24, v68, v65
	v_lshrrev_b32_e32 v65, 16, v76
	v_cvt_f32_f16_e32 v65, v65
	s_delay_alu instid0(VALU_DEP_1) | instskip(NEXT) | instid1(VALU_DEP_1)
	v_mul_f32_e32 v65, s25, v65
	v_fma_mixhi_f16 v69, s24, v66, v65
	v_cndmask_b32_e64 v65, 0x80000000, 0, s3
	v_add_nc_u32_e32 v66, 32, v74
	s_delay_alu instid0(VALU_DEP_1)
	v_lshl_add_u32 v65, v66, 1, v65
	buffer_store_b128 v[69:72], v65, s[8:11], 0 offen
	s_waitcnt lgkmcnt(0)
	s_waitcnt_vscnt null, 0x0
	s_barrier
	ds_store_2addr_b32 v177, v9, v10 offset1:32
	ds_store_2addr_b32 v177, v11, v12 offset0:64 offset1:96
	ds_store_2addr_b32 v177, v13, v14 offset0:128 offset1:160
	;; [unrolled: 1-line block ×3, first 2 shown]
	s_waitcnt lgkmcnt(0)
	s_barrier
	buffer_load_b128 v[9:12], v67, s[28:31], 0 offen
	v_or_b32_e32 v13, 0x60, v105
	v_add_nc_u32_e32 v15, s12, v66
	ds_load_b128 v[16:19], v0 offset:16
	v_cmp_gt_i32_e64 s3, s6, v13
	s_delay_alu instid0(VALU_DEP_1) | instskip(SKIP_3) | instid1(VALU_DEP_2)
	s_and_b32 s2, s2, s3
	s_and_b32 s0, s0, s3
	v_cndmask_b32_e64 v14, 0x80000000, 0, s2
	v_cmp_gt_i32_e64 s2, s5, v13
	v_lshl_add_u32 v20, v15, 1, v14
	s_delay_alu instid0(VALU_DEP_2)
	s_and_b32 s1, s1, s2
	s_and_b32 vcc_lo, vcc_lo, s2
	s_waitcnt vmcnt(0)
	v_cndmask_b32_e64 v21, 0, v12, s1
	ds_load_b128 v[12:15], v0
	v_cndmask_b32_e64 v9, 0, v9, s1
	v_cndmask_b32_e64 v10, 0, v10, s1
	;; [unrolled: 1-line block ×3, first 2 shown]
	v_cvt_f32_f16_e32 v25, v21
	v_lshrrev_b32_e32 v21, 16, v21
	v_cvt_f32_f16_e32 v22, v9
	v_lshrrev_b32_e32 v9, 16, v9
	;; [unrolled: 2-line block ×4, first 2 shown]
	v_mul_f32_e32 v22, s25, v22
	v_cvt_f32_f16_e32 v26, v9
	v_mul_f32_e32 v23, s25, v23
	v_cvt_f32_f16_e32 v27, v10
	;; [unrolled: 2-line block ×4, first 2 shown]
	s_waitcnt lgkmcnt(0)
	v_fma_mixlo_f16 v9, s24, v12, v22
	v_fma_mixlo_f16 v10, s24, v14, v23
	;; [unrolled: 1-line block ×4, first 2 shown]
	v_mul_f32_e32 v14, s25, v21
	v_mul_f32_e32 v16, s25, v28
	v_dual_mul_f32 v18, s25, v27 :: v_dual_mul_f32 v21, s25, v26
	s_delay_alu instid0(VALU_DEP_3) | instskip(NEXT) | instid1(VALU_DEP_3)
	v_fma_mixhi_f16 v12, s24, v19, v14
	v_fma_mixhi_f16 v11, s24, v17, v16
	s_delay_alu instid0(VALU_DEP_3) | instskip(NEXT) | instid1(VALU_DEP_4)
	v_fma_mixhi_f16 v10, s24, v15, v18
	v_fma_mixhi_f16 v9, s24, v13, v21
	v_add_lshl_u32 v13, v73, s7, 1
	buffer_store_b128 v[9:12], v20, s[8:11], 0 offen
	s_waitcnt lgkmcnt(0)
	s_waitcnt_vscnt null, 0x0
	s_barrier
	ds_store_2addr_b32 v177, v1, v2 offset1:32
	ds_store_2addr_b32 v177, v3, v4 offset0:64 offset1:96
	ds_store_2addr_b32 v177, v5, v6 offset0:128 offset1:160
	;; [unrolled: 1-line block ×3, first 2 shown]
	s_waitcnt lgkmcnt(0)
	s_barrier
	buffer_load_b128 v[1:4], v13, s[28:31], 0 offen
	v_cndmask_b32_e64 v12, 0x80000000, 0, s0
	ds_load_b128 v[8:11], v0 offset:16
	s_waitcnt vmcnt(0)
	v_cndmask_b32_e32 v13, 0, v4, vcc_lo
	ds_load_b128 v[4:7], v0
	v_dual_cndmask_b32 v1, 0, v1 :: v_dual_cndmask_b32 v2, 0, v2
	v_cndmask_b32_e32 v0, 0, v3, vcc_lo
	v_cvt_f32_f16_e32 v16, v13
	v_lshrrev_b32_e32 v13, 16, v13
	s_delay_alu instid0(VALU_DEP_4)
	v_cvt_f32_f16_e32 v3, v1
	v_lshrrev_b32_e32 v1, 16, v1
	v_cvt_f32_f16_e32 v14, v2
	v_lshrrev_b32_e32 v2, 16, v2
	;; [unrolled: 2-line block ×3, first 2 shown]
	v_mul_f32_e32 v3, s25, v3
	v_cvt_f32_f16_e32 v17, v1
	v_mul_f32_e32 v1, s25, v14
	v_cvt_f32_f16_e32 v14, v2
	;; [unrolled: 2-line block ×4, first 2 shown]
	s_waitcnt lgkmcnt(0)
	v_fma_mixlo_f16 v0, s24, v4, v3
	v_fma_mixlo_f16 v1, s24, v6, v1
	;; [unrolled: 1-line block ×4, first 2 shown]
	v_mul_f32_e32 v4, s25, v13
	v_mul_f32_e32 v6, s25, v15
	;; [unrolled: 1-line block ×3, first 2 shown]
	v_dual_mul_f32 v10, s25, v17 :: v_dual_add_nc_u32 v13, s12, v74
	s_delay_alu instid0(VALU_DEP_4) | instskip(NEXT) | instid1(VALU_DEP_4)
	v_fma_mixhi_f16 v3, s24, v11, v4
	v_fma_mixhi_f16 v2, s24, v9, v6
	s_delay_alu instid0(VALU_DEP_4) | instskip(NEXT) | instid1(VALU_DEP_4)
	v_fma_mixhi_f16 v1, s24, v7, v8
	v_fma_mixhi_f16 v0, s24, v5, v10
	v_lshl_add_u32 v4, v13, 1, v12
	buffer_store_b128 v[0:3], v4, s[8:11], 0 offen
	s_nop 0
	s_sendmsg sendmsg(MSG_DEALLOC_VGPRS)
	s_endpgm
	.section	.rodata,"a",@progbits
	.p2align	6, 0x0
	.amdhsa_kernel _ZN2ck36kernel_gemm_mupltipe_d_wmma_cshuffleINS_26GridwiseGemmMultipleD_WmmaIDF16_DF16_ffNS_5TupleIJDF16_EEEDF16_NS_16TensorDescriptorINS2_IJNS_5EmbedINS2_IJiiEEENS2_IJiNS_17integral_constantIiLi1EEEEEELb0EEENS_8RightPadIiiLb0EEESC_NS_7UnMergeINS2_IJiNS7_IiLi8EEEEEELb0EEENS_11PassThroughIiEEEEENS2_IJNS_8SequenceIJLi0EEEENSK_IJLi1EEEENSK_IJLi2EEEENSK_IJLi4EEEENSK_IJLi3EEEEEEENS2_IJNSK_IJLi1ELi2EEEESP_SO_NSK_IJLi5ELi6EEEENSK_IJLi7EEEEEEENSK_IJLi5ELi7ELi6EEEElEESW_NS2_IJNS4_INS2_IJSA_SC_SC_EEENS2_IJSL_SM_SN_EEENS2_IJSR_SP_SO_EEENSK_IJLi3ELi4EEEElEEEEES11_NS_16tensor_operation12element_wise11PassThroughES15_12AlphaBetaAddLNS_25InMemoryDataOperationEnumE0ELi128ELi64ELi64ELi16ELi16ELi8ELi4ELi2ELi128ENSK_IJLi4ELi32ELi1EEEENSK_IJLi1ELi0ELi2EEEES19_Li2ELi8ELi8ELb0ELb1ELb1ES18_S19_S19_Li2ELi8ELi8ELb0ELb1ELb1ELi1ELi1ENSK_IJLi1ELi32ELi1ELi4EEEELi8ELi2ELNS_13LoopSchedulerE0ELNS_15PipelineVersionE0EEEDF16_DF16_NS2_IJPKDF16_EEEDF16_SW_SW_NS2_IJNS4_INS2_IJSA_SC_SC_NSD_INS2_IJiNS7_IiLi128EEEEEELb0EEENSD_INS2_IJiNS7_IiLi64EEEEEELb0EEEEEENS2_IJSL_SM_SN_SP_SO_EEENS2_IJSR_SP_SO_SS_NSK_IJLi7ELi8EEEEEEENSK_IJLi5ELi6ELi7ELi8EEEElEEEEES1S_S15_S15_S16_NS_31BlockToCTileMap_M00_N0_M01AdaptILi128ELi64ES11_iEELb0EEEvPKT0_PKT1_T2_PT3_T4_T5_T6_T7_T8_T9_T10_T11_
		.amdhsa_group_segment_fixed_size 24800
		.amdhsa_private_segment_fixed_size 0
		.amdhsa_kernarg_size 360
		.amdhsa_user_sgpr_count 15
		.amdhsa_user_sgpr_dispatch_ptr 0
		.amdhsa_user_sgpr_queue_ptr 0
		.amdhsa_user_sgpr_kernarg_segment_ptr 1
		.amdhsa_user_sgpr_dispatch_id 0
		.amdhsa_user_sgpr_private_segment_size 0
		.amdhsa_wavefront_size32 1
		.amdhsa_uses_dynamic_stack 0
		.amdhsa_enable_private_segment 0
		.amdhsa_system_sgpr_workgroup_id_x 1
		.amdhsa_system_sgpr_workgroup_id_y 0
		.amdhsa_system_sgpr_workgroup_id_z 0
		.amdhsa_system_sgpr_workgroup_info 0
		.amdhsa_system_vgpr_workitem_id 0
		.amdhsa_next_free_vgpr 204
		.amdhsa_next_free_sgpr 35
		.amdhsa_reserve_vcc 1
		.amdhsa_float_round_mode_32 0
		.amdhsa_float_round_mode_16_64 0
		.amdhsa_float_denorm_mode_32 3
		.amdhsa_float_denorm_mode_16_64 3
		.amdhsa_dx10_clamp 1
		.amdhsa_ieee_mode 1
		.amdhsa_fp16_overflow 0
		.amdhsa_workgroup_processor_mode 1
		.amdhsa_memory_ordered 1
		.amdhsa_forward_progress 0
		.amdhsa_shared_vgpr_count 0
		.amdhsa_exception_fp_ieee_invalid_op 0
		.amdhsa_exception_fp_denorm_src 0
		.amdhsa_exception_fp_ieee_div_zero 0
		.amdhsa_exception_fp_ieee_overflow 0
		.amdhsa_exception_fp_ieee_underflow 0
		.amdhsa_exception_fp_ieee_inexact 0
		.amdhsa_exception_int_div_zero 0
	.end_amdhsa_kernel
	.section	.text._ZN2ck36kernel_gemm_mupltipe_d_wmma_cshuffleINS_26GridwiseGemmMultipleD_WmmaIDF16_DF16_ffNS_5TupleIJDF16_EEEDF16_NS_16TensorDescriptorINS2_IJNS_5EmbedINS2_IJiiEEENS2_IJiNS_17integral_constantIiLi1EEEEEELb0EEENS_8RightPadIiiLb0EEESC_NS_7UnMergeINS2_IJiNS7_IiLi8EEEEEELb0EEENS_11PassThroughIiEEEEENS2_IJNS_8SequenceIJLi0EEEENSK_IJLi1EEEENSK_IJLi2EEEENSK_IJLi4EEEENSK_IJLi3EEEEEEENS2_IJNSK_IJLi1ELi2EEEESP_SO_NSK_IJLi5ELi6EEEENSK_IJLi7EEEEEEENSK_IJLi5ELi7ELi6EEEElEESW_NS2_IJNS4_INS2_IJSA_SC_SC_EEENS2_IJSL_SM_SN_EEENS2_IJSR_SP_SO_EEENSK_IJLi3ELi4EEEElEEEEES11_NS_16tensor_operation12element_wise11PassThroughES15_12AlphaBetaAddLNS_25InMemoryDataOperationEnumE0ELi128ELi64ELi64ELi16ELi16ELi8ELi4ELi2ELi128ENSK_IJLi4ELi32ELi1EEEENSK_IJLi1ELi0ELi2EEEES19_Li2ELi8ELi8ELb0ELb1ELb1ES18_S19_S19_Li2ELi8ELi8ELb0ELb1ELb1ELi1ELi1ENSK_IJLi1ELi32ELi1ELi4EEEELi8ELi2ELNS_13LoopSchedulerE0ELNS_15PipelineVersionE0EEEDF16_DF16_NS2_IJPKDF16_EEEDF16_SW_SW_NS2_IJNS4_INS2_IJSA_SC_SC_NSD_INS2_IJiNS7_IiLi128EEEEEELb0EEENSD_INS2_IJiNS7_IiLi64EEEEEELb0EEEEEENS2_IJSL_SM_SN_SP_SO_EEENS2_IJSR_SP_SO_SS_NSK_IJLi7ELi8EEEEEEENSK_IJLi5ELi6ELi7ELi8EEEElEEEEES1S_S15_S15_S16_NS_31BlockToCTileMap_M00_N0_M01AdaptILi128ELi64ES11_iEELb0EEEvPKT0_PKT1_T2_PT3_T4_T5_T6_T7_T8_T9_T10_T11_,"axG",@progbits,_ZN2ck36kernel_gemm_mupltipe_d_wmma_cshuffleINS_26GridwiseGemmMultipleD_WmmaIDF16_DF16_ffNS_5TupleIJDF16_EEEDF16_NS_16TensorDescriptorINS2_IJNS_5EmbedINS2_IJiiEEENS2_IJiNS_17integral_constantIiLi1EEEEEELb0EEENS_8RightPadIiiLb0EEESC_NS_7UnMergeINS2_IJiNS7_IiLi8EEEEEELb0EEENS_11PassThroughIiEEEEENS2_IJNS_8SequenceIJLi0EEEENSK_IJLi1EEEENSK_IJLi2EEEENSK_IJLi4EEEENSK_IJLi3EEEEEEENS2_IJNSK_IJLi1ELi2EEEESP_SO_NSK_IJLi5ELi6EEEENSK_IJLi7EEEEEEENSK_IJLi5ELi7ELi6EEEElEESW_NS2_IJNS4_INS2_IJSA_SC_SC_EEENS2_IJSL_SM_SN_EEENS2_IJSR_SP_SO_EEENSK_IJLi3ELi4EEEElEEEEES11_NS_16tensor_operation12element_wise11PassThroughES15_12AlphaBetaAddLNS_25InMemoryDataOperationEnumE0ELi128ELi64ELi64ELi16ELi16ELi8ELi4ELi2ELi128ENSK_IJLi4ELi32ELi1EEEENSK_IJLi1ELi0ELi2EEEES19_Li2ELi8ELi8ELb0ELb1ELb1ES18_S19_S19_Li2ELi8ELi8ELb0ELb1ELb1ELi1ELi1ENSK_IJLi1ELi32ELi1ELi4EEEELi8ELi2ELNS_13LoopSchedulerE0ELNS_15PipelineVersionE0EEEDF16_DF16_NS2_IJPKDF16_EEEDF16_SW_SW_NS2_IJNS4_INS2_IJSA_SC_SC_NSD_INS2_IJiNS7_IiLi128EEEEEELb0EEENSD_INS2_IJiNS7_IiLi64EEEEEELb0EEEEEENS2_IJSL_SM_SN_SP_SO_EEENS2_IJSR_SP_SO_SS_NSK_IJLi7ELi8EEEEEEENSK_IJLi5ELi6ELi7ELi8EEEElEEEEES1S_S15_S15_S16_NS_31BlockToCTileMap_M00_N0_M01AdaptILi128ELi64ES11_iEELb0EEEvPKT0_PKT1_T2_PT3_T4_T5_T6_T7_T8_T9_T10_T11_,comdat
.Lfunc_end2:
	.size	_ZN2ck36kernel_gemm_mupltipe_d_wmma_cshuffleINS_26GridwiseGemmMultipleD_WmmaIDF16_DF16_ffNS_5TupleIJDF16_EEEDF16_NS_16TensorDescriptorINS2_IJNS_5EmbedINS2_IJiiEEENS2_IJiNS_17integral_constantIiLi1EEEEEELb0EEENS_8RightPadIiiLb0EEESC_NS_7UnMergeINS2_IJiNS7_IiLi8EEEEEELb0EEENS_11PassThroughIiEEEEENS2_IJNS_8SequenceIJLi0EEEENSK_IJLi1EEEENSK_IJLi2EEEENSK_IJLi4EEEENSK_IJLi3EEEEEEENS2_IJNSK_IJLi1ELi2EEEESP_SO_NSK_IJLi5ELi6EEEENSK_IJLi7EEEEEEENSK_IJLi5ELi7ELi6EEEElEESW_NS2_IJNS4_INS2_IJSA_SC_SC_EEENS2_IJSL_SM_SN_EEENS2_IJSR_SP_SO_EEENSK_IJLi3ELi4EEEElEEEEES11_NS_16tensor_operation12element_wise11PassThroughES15_12AlphaBetaAddLNS_25InMemoryDataOperationEnumE0ELi128ELi64ELi64ELi16ELi16ELi8ELi4ELi2ELi128ENSK_IJLi4ELi32ELi1EEEENSK_IJLi1ELi0ELi2EEEES19_Li2ELi8ELi8ELb0ELb1ELb1ES18_S19_S19_Li2ELi8ELi8ELb0ELb1ELb1ELi1ELi1ENSK_IJLi1ELi32ELi1ELi4EEEELi8ELi2ELNS_13LoopSchedulerE0ELNS_15PipelineVersionE0EEEDF16_DF16_NS2_IJPKDF16_EEEDF16_SW_SW_NS2_IJNS4_INS2_IJSA_SC_SC_NSD_INS2_IJiNS7_IiLi128EEEEEELb0EEENSD_INS2_IJiNS7_IiLi64EEEEEELb0EEEEEENS2_IJSL_SM_SN_SP_SO_EEENS2_IJSR_SP_SO_SS_NSK_IJLi7ELi8EEEEEEENSK_IJLi5ELi6ELi7ELi8EEEElEEEEES1S_S15_S15_S16_NS_31BlockToCTileMap_M00_N0_M01AdaptILi128ELi64ES11_iEELb0EEEvPKT0_PKT1_T2_PT3_T4_T5_T6_T7_T8_T9_T10_T11_, .Lfunc_end2-_ZN2ck36kernel_gemm_mupltipe_d_wmma_cshuffleINS_26GridwiseGemmMultipleD_WmmaIDF16_DF16_ffNS_5TupleIJDF16_EEEDF16_NS_16TensorDescriptorINS2_IJNS_5EmbedINS2_IJiiEEENS2_IJiNS_17integral_constantIiLi1EEEEEELb0EEENS_8RightPadIiiLb0EEESC_NS_7UnMergeINS2_IJiNS7_IiLi8EEEEEELb0EEENS_11PassThroughIiEEEEENS2_IJNS_8SequenceIJLi0EEEENSK_IJLi1EEEENSK_IJLi2EEEENSK_IJLi4EEEENSK_IJLi3EEEEEEENS2_IJNSK_IJLi1ELi2EEEESP_SO_NSK_IJLi5ELi6EEEENSK_IJLi7EEEEEEENSK_IJLi5ELi7ELi6EEEElEESW_NS2_IJNS4_INS2_IJSA_SC_SC_EEENS2_IJSL_SM_SN_EEENS2_IJSR_SP_SO_EEENSK_IJLi3ELi4EEEElEEEEES11_NS_16tensor_operation12element_wise11PassThroughES15_12AlphaBetaAddLNS_25InMemoryDataOperationEnumE0ELi128ELi64ELi64ELi16ELi16ELi8ELi4ELi2ELi128ENSK_IJLi4ELi32ELi1EEEENSK_IJLi1ELi0ELi2EEEES19_Li2ELi8ELi8ELb0ELb1ELb1ES18_S19_S19_Li2ELi8ELi8ELb0ELb1ELb1ELi1ELi1ENSK_IJLi1ELi32ELi1ELi4EEEELi8ELi2ELNS_13LoopSchedulerE0ELNS_15PipelineVersionE0EEEDF16_DF16_NS2_IJPKDF16_EEEDF16_SW_SW_NS2_IJNS4_INS2_IJSA_SC_SC_NSD_INS2_IJiNS7_IiLi128EEEEEELb0EEENSD_INS2_IJiNS7_IiLi64EEEEEELb0EEEEEENS2_IJSL_SM_SN_SP_SO_EEENS2_IJSR_SP_SO_SS_NSK_IJLi7ELi8EEEEEEENSK_IJLi5ELi6ELi7ELi8EEEElEEEEES1S_S15_S15_S16_NS_31BlockToCTileMap_M00_N0_M01AdaptILi128ELi64ES11_iEELb0EEEvPKT0_PKT1_T2_PT3_T4_T5_T6_T7_T8_T9_T10_T11_
                                        ; -- End function
	.section	.AMDGPU.csdata,"",@progbits
; Kernel info:
; codeLenInByte = 7240
; NumSgprs: 37
; NumVgprs: 204
; ScratchSize: 0
; MemoryBound: 0
; FloatMode: 240
; IeeeMode: 1
; LDSByteSize: 24800 bytes/workgroup (compile time only)
; SGPRBlocks: 4
; VGPRBlocks: 25
; NumSGPRsForWavesPerEU: 37
; NumVGPRsForWavesPerEU: 204
; Occupancy: 7
; WaveLimiterHint : 0
; COMPUTE_PGM_RSRC2:SCRATCH_EN: 0
; COMPUTE_PGM_RSRC2:USER_SGPR: 15
; COMPUTE_PGM_RSRC2:TRAP_HANDLER: 0
; COMPUTE_PGM_RSRC2:TGID_X_EN: 1
; COMPUTE_PGM_RSRC2:TGID_Y_EN: 0
; COMPUTE_PGM_RSRC2:TGID_Z_EN: 0
; COMPUTE_PGM_RSRC2:TIDIG_COMP_CNT: 0
	.text
	.p2alignl 7, 3214868480
	.fill 96, 4, 3214868480
	.type	__hip_cuid_3272d3569b55b751,@object ; @__hip_cuid_3272d3569b55b751
	.section	.bss,"aw",@nobits
	.globl	__hip_cuid_3272d3569b55b751
__hip_cuid_3272d3569b55b751:
	.byte	0                               ; 0x0
	.size	__hip_cuid_3272d3569b55b751, 1

	.ident	"AMD clang version 19.0.0git (https://github.com/RadeonOpenCompute/llvm-project roc-6.4.0 25133 c7fe45cf4b819c5991fe208aaa96edf142730f1d)"
	.section	".note.GNU-stack","",@progbits
	.addrsig
	.addrsig_sym __hip_cuid_3272d3569b55b751
	.amdgpu_metadata
---
amdhsa.kernels:
  - .args:           []
    .group_segment_fixed_size: 0
    .kernarg_segment_align: 4
    .kernarg_segment_size: 0
    .language:       OpenCL C
    .language_version:
      - 2
      - 0
    .max_flat_workgroup_size: 1024
    .name:           _ZN2ckL12flush_icacheEv
    .private_segment_fixed_size: 0
    .sgpr_count:     0
    .sgpr_spill_count: 0
    .symbol:         _ZN2ckL12flush_icacheEv.kd
    .uniform_work_group_size: 1
    .uses_dynamic_stack: false
    .vgpr_count:     0
    .vgpr_spill_count: 0
    .wavefront_size: 32
    .workgroup_processor_mode: 1
  - .args:
      - .address_space:  global
        .offset:         0
        .size:           8
        .value_kind:     global_buffer
      - .address_space:  global
        .offset:         8
        .size:           8
        .value_kind:     global_buffer
      - .address_space:  global
        .offset:         16
        .size:           8
        .value_kind:     global_buffer
      - .address_space:  global
        .offset:         24
        .size:           8
        .value_kind:     global_buffer
      - .offset:         32
        .size:           72
        .value_kind:     by_value
      - .offset:         104
        .size:           72
        .value_kind:     by_value
      - .offset:         176
        .size:           80
        .value_kind:     by_value
      - .offset:         256
        .size:           80
        .value_kind:     by_value
      - .offset:         336
        .size:           1
        .value_kind:     by_value
      - .offset:         337
        .size:           1
        .value_kind:     by_value
      - .offset:         340
        .size:           8
        .value_kind:     by_value
      - .offset:         348
        .size:           12
        .value_kind:     by_value
    .group_segment_fixed_size: 24800
    .kernarg_segment_align: 8
    .kernarg_segment_size: 360
    .language:       OpenCL C
    .language_version:
      - 2
      - 0
    .max_flat_workgroup_size: 256
    .name:           _ZN2ck36kernel_gemm_mupltipe_d_wmma_cshuffleINS_26GridwiseGemmMultipleD_WmmaIDF16_DF16_ffNS_5TupleIJDF16_EEEDF16_NS_16TensorDescriptorINS2_IJNS_5EmbedINS2_IJiiEEENS2_IJiNS_17integral_constantIiLi1EEEEEELb0EEENS_8RightPadIiiLb0EEESC_NS_7UnMergeINS2_IJiNS7_IiLi8EEEEEELb0EEENS_11PassThroughIiEEEEENS2_IJNS_8SequenceIJLi0EEEENSK_IJLi1EEEENSK_IJLi2EEEENSK_IJLi4EEEENSK_IJLi3EEEEEEENS2_IJNSK_IJLi1ELi2EEEESP_SO_NSK_IJLi5ELi6EEEENSK_IJLi7EEEEEEENSK_IJLi5ELi7ELi6EEEElEESW_NS2_IJNS4_INS2_IJSA_SC_SC_EEENS2_IJSL_SM_SN_EEENS2_IJSR_SP_SO_EEENSK_IJLi3ELi4EEEElEEEEES11_NS_16tensor_operation12element_wise11PassThroughES15_12AlphaBetaAddLNS_25InMemoryDataOperationEnumE0ELi128ELi64ELi64ELi16ELi16ELi8ELi4ELi2ELi128ENSK_IJLi4ELi32ELi1EEEENSK_IJLi1ELi0ELi2EEEES19_Li2ELi8ELi8ELb0ELb1ELb1ES18_S19_S19_Li2ELi8ELi8ELb0ELb1ELb1ELi1ELi1ENSK_IJLi1ELi32ELi1ELi4EEEELi8ELi2ELNS_13LoopSchedulerE0ELNS_15PipelineVersionE0EEEDF16_DF16_NS2_IJPKDF16_EEEDF16_SW_SW_NS2_IJNS4_INS2_IJSA_SC_SC_NSD_INS2_IJiNS7_IiLi128EEEEEELb0EEENSD_INS2_IJiNS7_IiLi64EEEEEELb0EEEEEENS2_IJSL_SM_SN_SP_SO_EEENS2_IJSR_SP_SO_SS_NSK_IJLi7ELi8EEEEEEENSK_IJLi5ELi6ELi7ELi8EEEElEEEEES1S_S15_S15_S16_NS_31BlockToCTileMap_M00_N0_M01AdaptILi128ELi64ES11_iEELb1EEEvPKT0_PKT1_T2_PT3_T4_T5_T6_T7_T8_T9_T10_T11_
    .private_segment_fixed_size: 0
    .sgpr_count:     87
    .sgpr_spill_count: 0
    .symbol:         _ZN2ck36kernel_gemm_mupltipe_d_wmma_cshuffleINS_26GridwiseGemmMultipleD_WmmaIDF16_DF16_ffNS_5TupleIJDF16_EEEDF16_NS_16TensorDescriptorINS2_IJNS_5EmbedINS2_IJiiEEENS2_IJiNS_17integral_constantIiLi1EEEEEELb0EEENS_8RightPadIiiLb0EEESC_NS_7UnMergeINS2_IJiNS7_IiLi8EEEEEELb0EEENS_11PassThroughIiEEEEENS2_IJNS_8SequenceIJLi0EEEENSK_IJLi1EEEENSK_IJLi2EEEENSK_IJLi4EEEENSK_IJLi3EEEEEEENS2_IJNSK_IJLi1ELi2EEEESP_SO_NSK_IJLi5ELi6EEEENSK_IJLi7EEEEEEENSK_IJLi5ELi7ELi6EEEElEESW_NS2_IJNS4_INS2_IJSA_SC_SC_EEENS2_IJSL_SM_SN_EEENS2_IJSR_SP_SO_EEENSK_IJLi3ELi4EEEElEEEEES11_NS_16tensor_operation12element_wise11PassThroughES15_12AlphaBetaAddLNS_25InMemoryDataOperationEnumE0ELi128ELi64ELi64ELi16ELi16ELi8ELi4ELi2ELi128ENSK_IJLi4ELi32ELi1EEEENSK_IJLi1ELi0ELi2EEEES19_Li2ELi8ELi8ELb0ELb1ELb1ES18_S19_S19_Li2ELi8ELi8ELb0ELb1ELb1ELi1ELi1ENSK_IJLi1ELi32ELi1ELi4EEEELi8ELi2ELNS_13LoopSchedulerE0ELNS_15PipelineVersionE0EEEDF16_DF16_NS2_IJPKDF16_EEEDF16_SW_SW_NS2_IJNS4_INS2_IJSA_SC_SC_NSD_INS2_IJiNS7_IiLi128EEEEEELb0EEENSD_INS2_IJiNS7_IiLi64EEEEEELb0EEEEEENS2_IJSL_SM_SN_SP_SO_EEENS2_IJSR_SP_SO_SS_NSK_IJLi7ELi8EEEEEEENSK_IJLi5ELi6ELi7ELi8EEEElEEEEES1S_S15_S15_S16_NS_31BlockToCTileMap_M00_N0_M01AdaptILi128ELi64ES11_iEELb1EEEvPKT0_PKT1_T2_PT3_T4_T5_T6_T7_T8_T9_T10_T11_.kd
    .uniform_work_group_size: 1
    .uses_dynamic_stack: false
    .vgpr_count:     233
    .vgpr_spill_count: 0
    .wavefront_size: 32
    .workgroup_processor_mode: 1
  - .args:
      - .address_space:  global
        .offset:         0
        .size:           8
        .value_kind:     global_buffer
      - .address_space:  global
        .offset:         8
        .size:           8
        .value_kind:     global_buffer
      - .address_space:  global
        .offset:         16
        .size:           8
        .value_kind:     global_buffer
      - .address_space:  global
        .offset:         24
        .size:           8
        .value_kind:     global_buffer
      - .offset:         32
        .size:           72
        .value_kind:     by_value
      - .offset:         104
        .size:           72
        .value_kind:     by_value
      - .offset:         176
        .size:           80
        .value_kind:     by_value
      - .offset:         256
        .size:           80
        .value_kind:     by_value
      - .offset:         336
        .size:           1
        .value_kind:     by_value
      - .offset:         337
        .size:           1
        .value_kind:     by_value
      - .offset:         340
        .size:           8
        .value_kind:     by_value
      - .offset:         348
        .size:           12
        .value_kind:     by_value
    .group_segment_fixed_size: 24800
    .kernarg_segment_align: 8
    .kernarg_segment_size: 360
    .language:       OpenCL C
    .language_version:
      - 2
      - 0
    .max_flat_workgroup_size: 256
    .name:           _ZN2ck36kernel_gemm_mupltipe_d_wmma_cshuffleINS_26GridwiseGemmMultipleD_WmmaIDF16_DF16_ffNS_5TupleIJDF16_EEEDF16_NS_16TensorDescriptorINS2_IJNS_5EmbedINS2_IJiiEEENS2_IJiNS_17integral_constantIiLi1EEEEEELb0EEENS_8RightPadIiiLb0EEESC_NS_7UnMergeINS2_IJiNS7_IiLi8EEEEEELb0EEENS_11PassThroughIiEEEEENS2_IJNS_8SequenceIJLi0EEEENSK_IJLi1EEEENSK_IJLi2EEEENSK_IJLi4EEEENSK_IJLi3EEEEEEENS2_IJNSK_IJLi1ELi2EEEESP_SO_NSK_IJLi5ELi6EEEENSK_IJLi7EEEEEEENSK_IJLi5ELi7ELi6EEEElEESW_NS2_IJNS4_INS2_IJSA_SC_SC_EEENS2_IJSL_SM_SN_EEENS2_IJSR_SP_SO_EEENSK_IJLi3ELi4EEEElEEEEES11_NS_16tensor_operation12element_wise11PassThroughES15_12AlphaBetaAddLNS_25InMemoryDataOperationEnumE0ELi128ELi64ELi64ELi16ELi16ELi8ELi4ELi2ELi128ENSK_IJLi4ELi32ELi1EEEENSK_IJLi1ELi0ELi2EEEES19_Li2ELi8ELi8ELb0ELb1ELb1ES18_S19_S19_Li2ELi8ELi8ELb0ELb1ELb1ELi1ELi1ENSK_IJLi1ELi32ELi1ELi4EEEELi8ELi2ELNS_13LoopSchedulerE0ELNS_15PipelineVersionE0EEEDF16_DF16_NS2_IJPKDF16_EEEDF16_SW_SW_NS2_IJNS4_INS2_IJSA_SC_SC_NSD_INS2_IJiNS7_IiLi128EEEEEELb0EEENSD_INS2_IJiNS7_IiLi64EEEEEELb0EEEEEENS2_IJSL_SM_SN_SP_SO_EEENS2_IJSR_SP_SO_SS_NSK_IJLi7ELi8EEEEEEENSK_IJLi5ELi6ELi7ELi8EEEElEEEEES1S_S15_S15_S16_NS_31BlockToCTileMap_M00_N0_M01AdaptILi128ELi64ES11_iEELb0EEEvPKT0_PKT1_T2_PT3_T4_T5_T6_T7_T8_T9_T10_T11_
    .private_segment_fixed_size: 0
    .sgpr_count:     37
    .sgpr_spill_count: 0
    .symbol:         _ZN2ck36kernel_gemm_mupltipe_d_wmma_cshuffleINS_26GridwiseGemmMultipleD_WmmaIDF16_DF16_ffNS_5TupleIJDF16_EEEDF16_NS_16TensorDescriptorINS2_IJNS_5EmbedINS2_IJiiEEENS2_IJiNS_17integral_constantIiLi1EEEEEELb0EEENS_8RightPadIiiLb0EEESC_NS_7UnMergeINS2_IJiNS7_IiLi8EEEEEELb0EEENS_11PassThroughIiEEEEENS2_IJNS_8SequenceIJLi0EEEENSK_IJLi1EEEENSK_IJLi2EEEENSK_IJLi4EEEENSK_IJLi3EEEEEEENS2_IJNSK_IJLi1ELi2EEEESP_SO_NSK_IJLi5ELi6EEEENSK_IJLi7EEEEEEENSK_IJLi5ELi7ELi6EEEElEESW_NS2_IJNS4_INS2_IJSA_SC_SC_EEENS2_IJSL_SM_SN_EEENS2_IJSR_SP_SO_EEENSK_IJLi3ELi4EEEElEEEEES11_NS_16tensor_operation12element_wise11PassThroughES15_12AlphaBetaAddLNS_25InMemoryDataOperationEnumE0ELi128ELi64ELi64ELi16ELi16ELi8ELi4ELi2ELi128ENSK_IJLi4ELi32ELi1EEEENSK_IJLi1ELi0ELi2EEEES19_Li2ELi8ELi8ELb0ELb1ELb1ES18_S19_S19_Li2ELi8ELi8ELb0ELb1ELb1ELi1ELi1ENSK_IJLi1ELi32ELi1ELi4EEEELi8ELi2ELNS_13LoopSchedulerE0ELNS_15PipelineVersionE0EEEDF16_DF16_NS2_IJPKDF16_EEEDF16_SW_SW_NS2_IJNS4_INS2_IJSA_SC_SC_NSD_INS2_IJiNS7_IiLi128EEEEEELb0EEENSD_INS2_IJiNS7_IiLi64EEEEEELb0EEEEEENS2_IJSL_SM_SN_SP_SO_EEENS2_IJSR_SP_SO_SS_NSK_IJLi7ELi8EEEEEEENSK_IJLi5ELi6ELi7ELi8EEEElEEEEES1S_S15_S15_S16_NS_31BlockToCTileMap_M00_N0_M01AdaptILi128ELi64ES11_iEELb0EEEvPKT0_PKT1_T2_PT3_T4_T5_T6_T7_T8_T9_T10_T11_.kd
    .uniform_work_group_size: 1
    .uses_dynamic_stack: false
    .vgpr_count:     204
    .vgpr_spill_count: 0
    .wavefront_size: 32
    .workgroup_processor_mode: 1
amdhsa.target:   amdgcn-amd-amdhsa--gfx1100
amdhsa.version:
  - 1
  - 2
...

	.end_amdgpu_metadata
